;; amdgpu-corpus repo=ROCm/rocFFT kind=compiled arch=gfx1201 opt=O3
	.text
	.amdgcn_target "amdgcn-amd-amdhsa--gfx1201"
	.amdhsa_code_object_version 6
	.protected	fft_rtc_back_len2025_factors_3_3_5_5_3_3_wgs_135_tpt_135_halfLds_sp_op_CI_CI_unitstride_sbrr_dirReg ; -- Begin function fft_rtc_back_len2025_factors_3_3_5_5_3_3_wgs_135_tpt_135_halfLds_sp_op_CI_CI_unitstride_sbrr_dirReg
	.globl	fft_rtc_back_len2025_factors_3_3_5_5_3_3_wgs_135_tpt_135_halfLds_sp_op_CI_CI_unitstride_sbrr_dirReg
	.p2align	8
	.type	fft_rtc_back_len2025_factors_3_3_5_5_3_3_wgs_135_tpt_135_halfLds_sp_op_CI_CI_unitstride_sbrr_dirReg,@function
fft_rtc_back_len2025_factors_3_3_5_5_3_3_wgs_135_tpt_135_halfLds_sp_op_CI_CI_unitstride_sbrr_dirReg: ; @fft_rtc_back_len2025_factors_3_3_5_5_3_3_wgs_135_tpt_135_halfLds_sp_op_CI_CI_unitstride_sbrr_dirReg
; %bb.0:
	s_clause 0x2
	s_load_b128 s[8:11], s[0:1], 0x0
	s_load_b128 s[4:7], s[0:1], 0x58
	;; [unrolled: 1-line block ×3, first 2 shown]
	v_mul_u32_u24_e32 v1, 0x1e6, v0
	v_mov_b32_e32 v7, 0
	v_mov_b32_e32 v5, 0
	;; [unrolled: 1-line block ×3, first 2 shown]
	s_delay_alu instid0(VALU_DEP_4) | instskip(NEXT) | instid1(VALU_DEP_1)
	v_lshrrev_b32_e32 v1, 16, v1
	v_dual_mov_b32 v10, v7 :: v_dual_add_nc_u32 v9, ttmp9, v1
	s_wait_kmcnt 0x0
	v_cmp_lt_u64_e64 s2, s[10:11], 2
	s_delay_alu instid0(VALU_DEP_1)
	s_and_b32 vcc_lo, exec_lo, s2
	s_cbranch_vccnz .LBB0_8
; %bb.1:
	s_load_b64 s[2:3], s[0:1], 0x10
	v_mov_b32_e32 v5, 0
	v_mov_b32_e32 v6, 0
	s_delay_alu instid0(VALU_DEP_2)
	v_mov_b32_e32 v1, v5
	s_add_nc_u64 s[16:17], s[14:15], 8
	s_add_nc_u64 s[18:19], s[12:13], 8
	s_mov_b64 s[20:21], 1
	v_mov_b32_e32 v2, v6
	s_wait_kmcnt 0x0
	s_add_nc_u64 s[22:23], s[2:3], 8
	s_mov_b32 s3, 0
.LBB0_2:                                ; =>This Inner Loop Header: Depth=1
	s_load_b64 s[24:25], s[22:23], 0x0
                                        ; implicit-def: $vgpr3_vgpr4
	s_mov_b32 s2, exec_lo
	s_wait_kmcnt 0x0
	v_or_b32_e32 v8, s25, v10
	s_delay_alu instid0(VALU_DEP_1)
	v_cmpx_ne_u64_e32 0, v[7:8]
	s_wait_alu 0xfffe
	s_xor_b32 s26, exec_lo, s2
	s_cbranch_execz .LBB0_4
; %bb.3:                                ;   in Loop: Header=BB0_2 Depth=1
	s_cvt_f32_u32 s2, s24
	s_cvt_f32_u32 s27, s25
	s_sub_nc_u64 s[30:31], 0, s[24:25]
	s_wait_alu 0xfffe
	s_delay_alu instid0(SALU_CYCLE_1) | instskip(SKIP_1) | instid1(SALU_CYCLE_2)
	s_fmamk_f32 s2, s27, 0x4f800000, s2
	s_wait_alu 0xfffe
	v_s_rcp_f32 s2, s2
	s_delay_alu instid0(TRANS32_DEP_1) | instskip(SKIP_1) | instid1(SALU_CYCLE_2)
	s_mul_f32 s2, s2, 0x5f7ffffc
	s_wait_alu 0xfffe
	s_mul_f32 s27, s2, 0x2f800000
	s_wait_alu 0xfffe
	s_delay_alu instid0(SALU_CYCLE_2) | instskip(SKIP_1) | instid1(SALU_CYCLE_2)
	s_trunc_f32 s27, s27
	s_wait_alu 0xfffe
	s_fmamk_f32 s2, s27, 0xcf800000, s2
	s_cvt_u32_f32 s29, s27
	s_wait_alu 0xfffe
	s_delay_alu instid0(SALU_CYCLE_1) | instskip(SKIP_1) | instid1(SALU_CYCLE_2)
	s_cvt_u32_f32 s28, s2
	s_wait_alu 0xfffe
	s_mul_u64 s[34:35], s[30:31], s[28:29]
	s_wait_alu 0xfffe
	s_mul_hi_u32 s37, s28, s35
	s_mul_i32 s36, s28, s35
	s_mul_hi_u32 s2, s28, s34
	s_mul_i32 s33, s29, s34
	s_wait_alu 0xfffe
	s_add_nc_u64 s[36:37], s[2:3], s[36:37]
	s_mul_hi_u32 s27, s29, s34
	s_mul_hi_u32 s38, s29, s35
	s_add_co_u32 s2, s36, s33
	s_wait_alu 0xfffe
	s_add_co_ci_u32 s2, s37, s27
	s_mul_i32 s34, s29, s35
	s_add_co_ci_u32 s35, s38, 0
	s_wait_alu 0xfffe
	s_add_nc_u64 s[34:35], s[2:3], s[34:35]
	s_wait_alu 0xfffe
	v_add_co_u32 v3, s2, s28, s34
	s_delay_alu instid0(VALU_DEP_1) | instskip(SKIP_1) | instid1(VALU_DEP_1)
	s_cmp_lg_u32 s2, 0
	s_add_co_ci_u32 s29, s29, s35
	v_readfirstlane_b32 s28, v3
	s_wait_alu 0xfffe
	s_delay_alu instid0(VALU_DEP_1)
	s_mul_u64 s[30:31], s[30:31], s[28:29]
	s_wait_alu 0xfffe
	s_mul_hi_u32 s35, s28, s31
	s_mul_i32 s34, s28, s31
	s_mul_hi_u32 s2, s28, s30
	s_mul_i32 s33, s29, s30
	s_wait_alu 0xfffe
	s_add_nc_u64 s[34:35], s[2:3], s[34:35]
	s_mul_hi_u32 s27, s29, s30
	s_mul_hi_u32 s28, s29, s31
	s_wait_alu 0xfffe
	s_add_co_u32 s2, s34, s33
	s_add_co_ci_u32 s2, s35, s27
	s_mul_i32 s30, s29, s31
	s_add_co_ci_u32 s31, s28, 0
	s_wait_alu 0xfffe
	s_add_nc_u64 s[30:31], s[2:3], s[30:31]
	s_wait_alu 0xfffe
	v_add_co_u32 v8, s2, v3, s30
	s_delay_alu instid0(VALU_DEP_1) | instskip(SKIP_1) | instid1(VALU_DEP_1)
	s_cmp_lg_u32 s2, 0
	s_add_co_ci_u32 s2, s29, s31
	v_mul_hi_u32 v15, v9, v8
	s_wait_alu 0xfffe
	v_mad_co_u64_u32 v[3:4], null, v9, s2, 0
	v_mad_co_u64_u32 v[11:12], null, v10, v8, 0
	;; [unrolled: 1-line block ×3, first 2 shown]
	s_delay_alu instid0(VALU_DEP_3) | instskip(SKIP_1) | instid1(VALU_DEP_4)
	v_add_co_u32 v3, vcc_lo, v15, v3
	s_wait_alu 0xfffd
	v_add_co_ci_u32_e32 v4, vcc_lo, 0, v4, vcc_lo
	s_delay_alu instid0(VALU_DEP_2) | instskip(SKIP_1) | instid1(VALU_DEP_2)
	v_add_co_u32 v3, vcc_lo, v3, v11
	s_wait_alu 0xfffd
	v_add_co_ci_u32_e32 v3, vcc_lo, v4, v12, vcc_lo
	s_wait_alu 0xfffd
	v_add_co_ci_u32_e32 v4, vcc_lo, 0, v14, vcc_lo
	s_delay_alu instid0(VALU_DEP_2) | instskip(SKIP_1) | instid1(VALU_DEP_2)
	v_add_co_u32 v8, vcc_lo, v3, v13
	s_wait_alu 0xfffd
	v_add_co_ci_u32_e32 v11, vcc_lo, 0, v4, vcc_lo
	s_delay_alu instid0(VALU_DEP_2) | instskip(SKIP_1) | instid1(VALU_DEP_3)
	v_mul_lo_u32 v12, s25, v8
	v_mad_co_u64_u32 v[3:4], null, s24, v8, 0
	v_mul_lo_u32 v13, s24, v11
	s_delay_alu instid0(VALU_DEP_2) | instskip(NEXT) | instid1(VALU_DEP_2)
	v_sub_co_u32 v3, vcc_lo, v9, v3
	v_add3_u32 v4, v4, v13, v12
	s_delay_alu instid0(VALU_DEP_1) | instskip(SKIP_1) | instid1(VALU_DEP_1)
	v_sub_nc_u32_e32 v12, v10, v4
	s_wait_alu 0xfffd
	v_subrev_co_ci_u32_e64 v12, s2, s25, v12, vcc_lo
	v_add_co_u32 v13, s2, v8, 2
	s_wait_alu 0xf1ff
	v_add_co_ci_u32_e64 v14, s2, 0, v11, s2
	v_sub_co_u32 v15, s2, v3, s24
	v_sub_co_ci_u32_e32 v4, vcc_lo, v10, v4, vcc_lo
	s_wait_alu 0xf1ff
	v_subrev_co_ci_u32_e64 v12, s2, 0, v12, s2
	s_delay_alu instid0(VALU_DEP_3) | instskip(NEXT) | instid1(VALU_DEP_3)
	v_cmp_le_u32_e32 vcc_lo, s24, v15
	v_cmp_eq_u32_e64 s2, s25, v4
	s_wait_alu 0xfffd
	v_cndmask_b32_e64 v15, 0, -1, vcc_lo
	v_cmp_le_u32_e32 vcc_lo, s25, v12
	s_wait_alu 0xfffd
	v_cndmask_b32_e64 v16, 0, -1, vcc_lo
	v_cmp_le_u32_e32 vcc_lo, s24, v3
	;; [unrolled: 3-line block ×3, first 2 shown]
	s_wait_alu 0xfffd
	v_cndmask_b32_e64 v17, 0, -1, vcc_lo
	v_cmp_eq_u32_e32 vcc_lo, s25, v12
	s_wait_alu 0xf1ff
	s_delay_alu instid0(VALU_DEP_2)
	v_cndmask_b32_e64 v3, v17, v3, s2
	s_wait_alu 0xfffd
	v_cndmask_b32_e32 v12, v16, v15, vcc_lo
	v_add_co_u32 v15, vcc_lo, v8, 1
	s_wait_alu 0xfffd
	v_add_co_ci_u32_e32 v16, vcc_lo, 0, v11, vcc_lo
	s_delay_alu instid0(VALU_DEP_3) | instskip(SKIP_1) | instid1(VALU_DEP_2)
	v_cmp_ne_u32_e32 vcc_lo, 0, v12
	s_wait_alu 0xfffd
	v_cndmask_b32_e32 v4, v16, v14, vcc_lo
	v_cndmask_b32_e32 v12, v15, v13, vcc_lo
	v_cmp_ne_u32_e32 vcc_lo, 0, v3
	s_wait_alu 0xfffd
	s_delay_alu instid0(VALU_DEP_3) | instskip(NEXT) | instid1(VALU_DEP_3)
	v_cndmask_b32_e32 v4, v11, v4, vcc_lo
	v_cndmask_b32_e32 v3, v8, v12, vcc_lo
.LBB0_4:                                ;   in Loop: Header=BB0_2 Depth=1
	s_wait_alu 0xfffe
	s_and_not1_saveexec_b32 s2, s26
	s_cbranch_execz .LBB0_6
; %bb.5:                                ;   in Loop: Header=BB0_2 Depth=1
	v_cvt_f32_u32_e32 v3, s24
	s_sub_co_i32 s26, 0, s24
	s_delay_alu instid0(VALU_DEP_1) | instskip(NEXT) | instid1(TRANS32_DEP_1)
	v_rcp_iflag_f32_e32 v3, v3
	v_mul_f32_e32 v3, 0x4f7ffffe, v3
	s_delay_alu instid0(VALU_DEP_1) | instskip(SKIP_1) | instid1(VALU_DEP_1)
	v_cvt_u32_f32_e32 v3, v3
	s_wait_alu 0xfffe
	v_mul_lo_u32 v4, s26, v3
	s_delay_alu instid0(VALU_DEP_1) | instskip(NEXT) | instid1(VALU_DEP_1)
	v_mul_hi_u32 v4, v3, v4
	v_add_nc_u32_e32 v3, v3, v4
	s_delay_alu instid0(VALU_DEP_1) | instskip(NEXT) | instid1(VALU_DEP_1)
	v_mul_hi_u32 v3, v9, v3
	v_mul_lo_u32 v4, v3, s24
	v_add_nc_u32_e32 v8, 1, v3
	s_delay_alu instid0(VALU_DEP_2) | instskip(NEXT) | instid1(VALU_DEP_1)
	v_sub_nc_u32_e32 v4, v9, v4
	v_subrev_nc_u32_e32 v11, s24, v4
	v_cmp_le_u32_e32 vcc_lo, s24, v4
	s_wait_alu 0xfffd
	s_delay_alu instid0(VALU_DEP_2) | instskip(NEXT) | instid1(VALU_DEP_1)
	v_dual_cndmask_b32 v4, v4, v11 :: v_dual_cndmask_b32 v3, v3, v8
	v_cmp_le_u32_e32 vcc_lo, s24, v4
	s_delay_alu instid0(VALU_DEP_2) | instskip(SKIP_2) | instid1(VALU_DEP_2)
	v_add_nc_u32_e32 v8, 1, v3
	v_mov_b32_e32 v4, v7
	s_wait_alu 0xfffd
	v_cndmask_b32_e32 v3, v3, v8, vcc_lo
.LBB0_6:                                ;   in Loop: Header=BB0_2 Depth=1
	s_wait_alu 0xfffe
	s_or_b32 exec_lo, exec_lo, s2
	v_mul_lo_u32 v8, v4, s24
	s_delay_alu instid0(VALU_DEP_2)
	v_mul_lo_u32 v13, v3, s25
	s_load_b64 s[26:27], s[18:19], 0x0
	v_mad_co_u64_u32 v[11:12], null, v3, s24, 0
	s_load_b64 s[24:25], s[16:17], 0x0
	s_add_nc_u64 s[20:21], s[20:21], 1
	s_add_nc_u64 s[16:17], s[16:17], 8
	s_wait_alu 0xfffe
	v_cmp_ge_u64_e64 s2, s[20:21], s[10:11]
	s_add_nc_u64 s[18:19], s[18:19], 8
	s_add_nc_u64 s[22:23], s[22:23], 8
	v_add3_u32 v8, v12, v13, v8
	v_sub_co_u32 v9, vcc_lo, v9, v11
	s_wait_alu 0xfffd
	s_delay_alu instid0(VALU_DEP_2) | instskip(SKIP_2) | instid1(VALU_DEP_1)
	v_sub_co_ci_u32_e32 v8, vcc_lo, v10, v8, vcc_lo
	s_and_b32 vcc_lo, exec_lo, s2
	s_wait_kmcnt 0x0
	v_mul_lo_u32 v10, s26, v8
	v_mul_lo_u32 v11, s27, v9
	v_mad_co_u64_u32 v[5:6], null, s26, v9, v[5:6]
	v_mul_lo_u32 v8, s24, v8
	v_mul_lo_u32 v12, s25, v9
	v_mad_co_u64_u32 v[1:2], null, s24, v9, v[1:2]
	s_delay_alu instid0(VALU_DEP_4) | instskip(NEXT) | instid1(VALU_DEP_2)
	v_add3_u32 v6, v11, v6, v10
	v_add3_u32 v2, v12, v2, v8
	s_wait_alu 0xfffe
	s_cbranch_vccnz .LBB0_9
; %bb.7:                                ;   in Loop: Header=BB0_2 Depth=1
	v_dual_mov_b32 v10, v4 :: v_dual_mov_b32 v9, v3
	s_branch .LBB0_2
.LBB0_8:
	v_dual_mov_b32 v1, v5 :: v_dual_mov_b32 v2, v6
	v_dual_mov_b32 v3, v9 :: v_dual_mov_b32 v4, v10
.LBB0_9:
	s_load_b64 s[0:1], s[0:1], 0x28
	v_mul_hi_u32 v8, 0x1e573ad, v0
	s_lshl_b64 s[10:11], s[10:11], 3
                                        ; implicit-def: $vgpr36
	s_wait_kmcnt 0x0
	v_cmp_gt_u64_e32 vcc_lo, s[0:1], v[3:4]
	v_cmp_le_u64_e64 s0, s[0:1], v[3:4]
	s_delay_alu instid0(VALU_DEP_1)
	s_and_saveexec_b32 s1, s0
	s_wait_alu 0xfffe
	s_xor_b32 s0, exec_lo, s1
; %bb.10:
	v_mul_u32_u24_e32 v5, 0x87, v8
                                        ; implicit-def: $vgpr8
	s_delay_alu instid0(VALU_DEP_1)
	v_sub_nc_u32_e32 v36, v0, v5
                                        ; implicit-def: $vgpr0
                                        ; implicit-def: $vgpr5_vgpr6
; %bb.11:
	s_wait_alu 0xfffe
	s_or_saveexec_b32 s1, s0
	s_add_nc_u64 s[2:3], s[14:15], s[10:11]
                                        ; implicit-def: $vgpr7
                                        ; implicit-def: $vgpr9
                                        ; implicit-def: $vgpr19
                                        ; implicit-def: $vgpr23
                                        ; implicit-def: $vgpr21
                                        ; implicit-def: $vgpr13
                                        ; implicit-def: $vgpr29
                                        ; implicit-def: $vgpr25
                                        ; implicit-def: $vgpr11
                                        ; implicit-def: $vgpr27
                                        ; implicit-def: $vgpr31
                                        ; implicit-def: $vgpr15
                                        ; implicit-def: $vgpr35
                                        ; implicit-def: $vgpr33
                                        ; implicit-def: $vgpr17
	s_wait_alu 0xfffe
	s_xor_b32 exec_lo, exec_lo, s1
	s_cbranch_execz .LBB0_13
; %bb.12:
	s_add_nc_u64 s[10:11], s[12:13], s[10:11]
	v_lshlrev_b64_e32 v[5:6], 3, v[5:6]
	s_load_b64 s[10:11], s[10:11], 0x0
	s_wait_kmcnt 0x0
	v_mul_lo_u32 v7, s11, v3
	v_mul_lo_u32 v11, s10, v4
	v_mad_co_u64_u32 v[9:10], null, s10, v3, 0
	s_delay_alu instid0(VALU_DEP_1) | instskip(SKIP_1) | instid1(VALU_DEP_2)
	v_add3_u32 v10, v10, v11, v7
	v_mul_u32_u24_e32 v11, 0x87, v8
	v_lshlrev_b64_e32 v[7:8], 3, v[9:10]
	s_delay_alu instid0(VALU_DEP_2) | instskip(NEXT) | instid1(VALU_DEP_2)
	v_sub_nc_u32_e32 v36, v0, v11
	v_add_co_u32 v0, s0, s4, v7
	s_wait_alu 0xf1ff
	s_delay_alu instid0(VALU_DEP_3) | instskip(NEXT) | instid1(VALU_DEP_3)
	v_add_co_ci_u32_e64 v7, s0, s5, v8, s0
	v_lshlrev_b32_e32 v8, 3, v36
	s_delay_alu instid0(VALU_DEP_3) | instskip(SKIP_1) | instid1(VALU_DEP_3)
	v_add_co_u32 v0, s0, v0, v5
	s_wait_alu 0xf1ff
	v_add_co_ci_u32_e64 v6, s0, v7, v6, s0
	s_delay_alu instid0(VALU_DEP_2) | instskip(SKIP_1) | instid1(VALU_DEP_2)
	v_add_co_u32 v5, s0, v0, v8
	s_wait_alu 0xf1ff
	v_add_co_ci_u32_e64 v6, s0, 0, v6, s0
	s_clause 0xe
	global_load_b64 v[26:27], v[5:6], off offset:11880
	global_load_b64 v[30:31], v[5:6], off offset:6480
	;; [unrolled: 1-line block ×3, first 2 shown]
	global_load_b64 v[16:17], v[5:6], off
	global_load_b64 v[14:15], v[5:6], off offset:1080
	global_load_b64 v[10:11], v[5:6], off offset:2160
	global_load_b64 v[12:13], v[5:6], off offset:3240
	global_load_b64 v[20:21], v[5:6], off offset:8640
	global_load_b64 v[32:33], v[5:6], off offset:5400
	global_load_b64 v[18:19], v[5:6], off offset:4320
	global_load_b64 v[34:35], v[5:6], off offset:10800
	global_load_b64 v[8:9], v[5:6], off offset:9720
	global_load_b64 v[28:29], v[5:6], off offset:12960
	global_load_b64 v[22:23], v[5:6], off offset:14040
	global_load_b64 v[6:7], v[5:6], off offset:15120
.LBB0_13:
	s_or_b32 exec_lo, exec_lo, s1
	s_wait_loadcnt 0x4
	v_dual_add_f32 v0, v34, v32 :: v_dual_sub_f32 v37, v33, v35
	v_dual_add_f32 v5, v32, v16 :: v_dual_add_f32 v38, v35, v33
	s_load_b64 s[2:3], s[2:3], 0x0
	s_delay_alu instid0(VALU_DEP_2) | instskip(SKIP_1) | instid1(VALU_DEP_3)
	v_fmac_f32_e32 v16, -0.5, v0
	v_add_f32_e32 v0, v33, v17
	v_add_f32_e32 v5, v34, v5
	v_fmac_f32_e32 v17, -0.5, v38
	s_delay_alu instid0(VALU_DEP_4) | instskip(NEXT) | instid1(VALU_DEP_4)
	v_dual_sub_f32 v32, v32, v34 :: v_dual_fmamk_f32 v33, v37, 0xbf5db3d7, v16
	v_dual_fmac_f32 v16, 0x3f5db3d7, v37 :: v_dual_add_f32 v35, v35, v0
	s_delay_alu instid0(VALU_DEP_2) | instskip(SKIP_2) | instid1(VALU_DEP_3)
	v_dual_add_f32 v0, v26, v30 :: v_dual_fmamk_f32 v37, v32, 0x3f5db3d7, v17
	v_dual_add_f32 v34, v30, v14 :: v_dual_fmac_f32 v17, 0xbf5db3d7, v32
	v_cmp_gt_u32_e64 s0, 0x5a, v36
	v_fmac_f32_e32 v14, -0.5, v0
	s_delay_alu instid0(VALU_DEP_3) | instskip(SKIP_4) | instid1(VALU_DEP_2)
	v_add_f32_e32 v34, v26, v34
	v_sub_f32_e32 v26, v30, v26
	v_add_f32_e32 v32, v27, v31
	v_sub_f32_e32 v0, v31, v27
	v_add_f32_e32 v31, v31, v15
	v_dual_fmac_f32 v15, -0.5, v32 :: v_dual_fmamk_f32 v30, v0, 0xbf5db3d7, v14
	v_fmac_f32_e32 v14, 0x3f5db3d7, v0
	s_wait_loadcnt 0x2
	s_delay_alu instid0(VALU_DEP_2) | instskip(SKIP_2) | instid1(VALU_DEP_3)
	v_dual_add_f32 v0, v28, v24 :: v_dual_fmamk_f32 v39, v26, 0x3f5db3d7, v15
	v_dual_fmac_f32 v15, 0xbf5db3d7, v26 :: v_dual_add_f32 v26, v29, v25
	v_dual_add_f32 v38, v27, v31 :: v_dual_add_f32 v27, v24, v10
	v_fmac_f32_e32 v10, -0.5, v0
	v_sub_f32_e32 v0, v25, v29
	v_add_f32_e32 v25, v25, v11
	v_dual_fmac_f32 v11, -0.5, v26 :: v_dual_sub_f32 v24, v24, v28
	v_add_f32_e32 v27, v28, v27
	s_delay_alu instid0(VALU_DEP_3)
	v_dual_add_f32 v40, v29, v25 :: v_dual_add_nc_u32 v31, 0x195, v36
	v_add_f32_e32 v25, v20, v12
	v_fmamk_f32 v26, v0, 0xbf5db3d7, v10
	v_fmac_f32_e32 v10, 0x3f5db3d7, v0
	s_wait_loadcnt 0x1
	v_dual_add_f32 v0, v22, v20 :: v_dual_fmamk_f32 v41, v24, 0x3f5db3d7, v11
	v_dual_fmac_f32 v11, 0xbf5db3d7, v24 :: v_dual_sub_f32 v20, v20, v22
	v_add_f32_e32 v24, v23, v21
	s_delay_alu instid0(VALU_DEP_3) | instskip(SKIP_3) | instid1(VALU_DEP_3)
	v_fmac_f32_e32 v12, -0.5, v0
	v_sub_f32_e32 v0, v21, v23
	v_add_f32_e32 v21, v21, v13
	v_add_f32_e32 v25, v22, v25
	v_dual_fmac_f32 v13, -0.5, v24 :: v_dual_fmamk_f32 v22, v0, 0xbf5db3d7, v12
	s_delay_alu instid0(VALU_DEP_3) | instskip(SKIP_2) | instid1(VALU_DEP_1)
	v_add_f32_e32 v21, v23, v21
	v_dual_add_f32 v23, v8, v18 :: v_dual_fmac_f32 v12, 0x3f5db3d7, v0
	s_wait_loadcnt 0x0
	v_dual_add_f32 v24, v6, v23 :: v_dual_add_nc_u32 v23, 0x10e, v36
	v_add_f32_e32 v0, v6, v8
	v_fmamk_f32 v42, v20, 0x3f5db3d7, v13
	v_dual_fmac_f32 v13, 0xbf5db3d7, v20 :: v_dual_add_f32 v20, v7, v9
	v_sub_f32_e32 v6, v8, v6
	s_delay_alu instid0(VALU_DEP_4) | instskip(SKIP_4) | instid1(VALU_DEP_2)
	v_fmac_f32_e32 v18, -0.5, v0
	v_sub_f32_e32 v0, v9, v7
	v_add_f32_e32 v9, v9, v19
	v_fmac_f32_e32 v19, -0.5, v20
	v_mad_u32_u24 v20, v36, 12, 0
	v_dual_add_f32 v43, v7, v9 :: v_dual_fmamk_f32 v44, v6, 0x3f5db3d7, v19
	v_fmac_f32_e32 v19, 0xbf5db3d7, v6
	s_delay_alu instid0(VALU_DEP_3)
	v_add_nc_u32_e32 v45, 0x654, v20
	v_lshlrev_b32_e32 v6, 3, v36
	v_add_nc_u32_e32 v46, 0xca8, v20
	v_add_nc_u32_e32 v47, 0x12fc, v20
	v_fmamk_f32 v8, v0, 0xbf5db3d7, v18
	v_add_nc_u32_e32 v48, 0x1950, v20
	ds_store_2addr_b32 v45, v34, v30 offset1:1
	ds_store_2addr_b32 v46, v27, v26 offset1:1
	;; [unrolled: 1-line block ×4, first 2 shown]
	v_sub_nc_u32_e32 v24, v20, v6
	v_fmac_f32_e32 v18, 0x3f5db3d7, v0
	ds_store_2addr_b32 v20, v5, v33 offset1:1
	ds_store_b32 v20, v16 offset:8
	ds_store_b32 v20, v14 offset:1628
	;; [unrolled: 1-line block ×5, first 2 shown]
	v_and_b32_e32 v16, 0xff, v36
	global_wb scope:SCOPE_SE
	s_wait_dscnt 0x0
	v_add_nc_u32_e32 v26, 0x800, v24
	v_add_nc_u32_e32 v25, 0x1400, v24
	;; [unrolled: 1-line block ×3, first 2 shown]
	v_mul_lo_u16 v14, 0xab, v16
	v_add_nc_u32_e32 v28, 0x400, v24
	s_wait_kmcnt 0x0
	s_barrier_signal -1
	s_barrier_wait -1
	global_inv scope:SCOPE_SE
	ds_load_2addr_b32 v[7:8], v24 offset1:135
	ds_load_2addr_b32 v[5:6], v26 offset0:28 offset1:163
	v_add_nc_u32_e32 v29, 0x1800, v24
	v_add_nc_u32_e32 v30, 0x1000, v24
	ds_load_2addr_b32 v[33:34], v25 offset0:70 offset1:205
	ds_load_2addr_b32 v[57:58], v27 offset0:42 offset1:177
	;; [unrolled: 1-line block ×5, first 2 shown]
	ds_load_b32 v77, v24 offset:7560
	global_wb scope:SCOPE_SE
	s_wait_dscnt 0x0
	s_barrier_signal -1
	s_barrier_wait -1
	global_inv scope:SCOPE_SE
	ds_store_2addr_b32 v45, v38, v39 offset1:1
	ds_store_2addr_b32 v46, v40, v41 offset1:1
	ds_store_2addr_b32 v47, v21, v42 offset1:1
	ds_store_2addr_b32 v48, v43, v44 offset1:1
	ds_store_2addr_b32 v20, v35, v37 offset1:1
	ds_store_b32 v20, v17 offset:8
	ds_store_b32 v20, v15 offset:1628
	;; [unrolled: 1-line block ×5, first 2 shown]
	v_lshrrev_b16 v15, 9, v14
	global_wb scope:SCOPE_SE
	s_wait_dscnt 0x0
	s_barrier_signal -1
	s_barrier_wait -1
	global_inv scope:SCOPE_SE
	v_mul_lo_u16 v17, v15, 3
	v_and_b32_e32 v11, 0xffff, v23
	v_and_b32_e32 v13, 0xffff, v31
	s_delay_alu instid0(VALU_DEP_3) | instskip(NEXT) | instid1(VALU_DEP_3)
	v_sub_nc_u16 v17, v36, v17
	v_mul_u32_u24_e32 v18, 0xaaab, v11
	s_delay_alu instid0(VALU_DEP_3) | instskip(NEXT) | instid1(VALU_DEP_3)
	v_mul_u32_u24_e32 v20, 0xaaab, v13
	v_and_b32_e32 v22, 0xff, v17
	s_delay_alu instid0(VALU_DEP_3) | instskip(NEXT) | instid1(VALU_DEP_3)
	v_lshrrev_b32_e32 v21, 17, v18
	v_lshrrev_b32_e32 v35, 17, v20
	s_delay_alu instid0(VALU_DEP_3) | instskip(NEXT) | instid1(VALU_DEP_3)
	v_lshlrev_b32_e32 v37, 4, v22
	v_mul_lo_u16 v20, v21, 3
	v_mul_u32_u24_e32 v86, 36, v21
	global_load_b128 v[37:40], v37, s[8:9]
	v_add_nc_u32_e32 v0, 0x87, v36
	v_sub_nc_u16 v20, v23, v20
	s_delay_alu instid0(VALU_DEP_2) | instskip(NEXT) | instid1(VALU_DEP_2)
	v_and_b32_e32 v12, 0xffff, v0
	v_and_b32_e32 v80, 0xffff, v20
	s_delay_alu instid0(VALU_DEP_2) | instskip(NEXT) | instid1(VALU_DEP_1)
	v_mul_u32_u24_e32 v14, 0xaaab, v12
	v_lshrrev_b32_e32 v19, 17, v14
	s_delay_alu instid0(VALU_DEP_1) | instskip(SKIP_1) | instid1(VALU_DEP_2)
	v_mul_lo_u16 v18, v19, 3
	v_mul_u32_u24_e32 v19, 36, v19
	v_sub_nc_u16 v18, v0, v18
	s_delay_alu instid0(VALU_DEP_1) | instskip(NEXT) | instid1(VALU_DEP_1)
	v_and_b32_e32 v79, 0xffff, v18
	v_lshlrev_b32_e32 v20, 4, v79
	global_load_b128 v[41:44], v20, s[8:9]
	v_add_nc_u32_e32 v32, 0x21c, v36
	s_delay_alu instid0(VALU_DEP_1) | instskip(NEXT) | instid1(VALU_DEP_1)
	v_and_b32_e32 v14, 0xffff, v32
	v_mul_u32_u24_e32 v17, 0xaaab, v14
	s_delay_alu instid0(VALU_DEP_1) | instskip(SKIP_2) | instid1(VALU_DEP_3)
	v_lshrrev_b32_e32 v78, 17, v17
	v_mul_lo_u16 v17, v35, 3
	v_mul_u32_u24_e32 v35, 36, v35
	v_mul_lo_u16 v18, v78, 3
	s_delay_alu instid0(VALU_DEP_3) | instskip(SKIP_1) | instid1(VALU_DEP_3)
	v_sub_nc_u16 v17, v31, v17
	v_mul_u32_u24_e32 v78, 36, v78
	v_sub_nc_u16 v18, v32, v18
	s_delay_alu instid0(VALU_DEP_3) | instskip(SKIP_1) | instid1(VALU_DEP_3)
	v_and_b32_e32 v81, 0xffff, v17
	v_lshlrev_b32_e32 v17, 4, v80
	v_and_b32_e32 v82, 0xffff, v18
	global_load_b128 v[45:48], v17, s[8:9]
	v_lshlrev_b32_e32 v18, 4, v81
	v_lshlrev_b32_e32 v81, 2, v81
	;; [unrolled: 1-line block ×3, first 2 shown]
	s_clause 0x1
	global_load_b128 v[49:52], v18, s[8:9]
	global_load_b128 v[53:56], v17, s[8:9]
	ds_load_2addr_b32 v[63:64], v24 offset1:135
	ds_load_2addr_b32 v[65:66], v26 offset0:28 offset1:163
	ds_load_2addr_b32 v[67:68], v25 offset0:70 offset1:205
	;; [unrolled: 1-line block ×6, first 2 shown]
	v_add3_u32 v35, 0, v35, v81
	ds_load_b32 v84, v24 offset:7560
	global_wb scope:SCOPE_SE
	s_wait_loadcnt_dscnt 0x0
	s_barrier_signal -1
	s_barrier_wait -1
	global_inv scope:SCOPE_SE
	v_mul_u32_u24_e32 v20, 0xe38f, v11
	v_mul_u32_u24_e32 v11, 0x2d83, v11
	s_delay_alu instid0(VALU_DEP_2) | instskip(NEXT) | instid1(VALU_DEP_1)
	v_lshrrev_b32_e32 v20, 19, v20
	v_mul_lo_u16 v87, v20, 9
	v_mul_f32_e32 v81, v67, v40
	v_dual_mul_f32 v40, v33, v40 :: v_dual_lshlrev_b32 v79, 2, v79
	s_delay_alu instid0(VALU_DEP_2) | instskip(NEXT) | instid1(VALU_DEP_2)
	v_fmac_f32_e32 v81, v33, v39
	v_fma_f32 v33, v67, v39, -v40
	s_delay_alu instid0(VALU_DEP_3) | instskip(SKIP_2) | instid1(VALU_DEP_2)
	v_add3_u32 v19, 0, v19, v79
	v_mul_f32_e32 v40, v34, v44
	v_mul_f32_e32 v39, v68, v44
	v_fma_f32 v40, v68, v43, -v40
	s_delay_alu instid0(VALU_DEP_2)
	v_fmac_f32_e32 v39, v34, v43
	v_mul_f32_e32 v44, v58, v46
	v_mul_f32_e32 v67, v74, v52
	;; [unrolled: 1-line block ×5, first 2 shown]
	s_delay_alu instid0(VALU_DEP_4) | instskip(NEXT) | instid1(VALU_DEP_4)
	v_dual_fmac_f32 v67, v60, v51 :: v_dual_lshlrev_b32 v80, 2, v80
	v_fma_f32 v34, v76, v53, -v34
	s_delay_alu instid0(VALU_DEP_3) | instskip(NEXT) | instid1(VALU_DEP_3)
	v_fma_f32 v43, v84, v55, -v43
	v_add3_u32 v79, 0, v86, v80
	v_mul_f32_e32 v80, v66, v38
	v_dual_mul_f32 v38, v6, v38 :: v_dual_and_b32 v15, 0xffff, v15
	s_delay_alu instid0(VALU_DEP_2) | instskip(NEXT) | instid1(VALU_DEP_2)
	v_fmac_f32_e32 v80, v6, v37
	v_fma_f32 v6, v66, v37, -v38
	v_mul_f32_e32 v37, v69, v42
	v_mul_f32_e32 v38, v57, v42
	;; [unrolled: 1-line block ×5, first 2 shown]
	v_dual_mul_f32 v66, v75, v50 :: v_dual_fmac_f32 v37, v57, v41
	v_fma_f32 v38, v69, v41, -v38
	v_fma_f32 v41, v70, v45, -v44
	v_fmac_f32_e32 v46, v59, v47
	v_fma_f32 v44, v73, v47, -v48
	v_fma_f32 v47, v74, v51, -v52
	v_sub_f32_e32 v52, v80, v81
	v_mul_f32_e32 v50, v61, v50
	v_fmac_f32_e32 v42, v58, v45
	v_dual_fmac_f32 v66, v61, v49 :: v_dual_add_f32 v51, v63, v6
	v_sub_f32_e32 v58, v41, v44
	s_delay_alu instid0(VALU_DEP_4) | instskip(SKIP_4) | instid1(VALU_DEP_4)
	v_fma_f32 v45, v75, v49, -v50
	v_dual_add_f32 v49, v80, v81 :: v_dual_add_f32 v48, v7, v80
	v_sub_f32_e32 v50, v6, v33
	v_sub_f32_e32 v70, v34, v43
	v_add_f32_e32 v6, v6, v33
	v_fma_f32 v7, -0.5, v49, v7
	v_add_f32_e32 v49, v51, v33
	v_add_f32_e32 v33, v37, v39
	v_mul_lo_u16 v17, v16, 57
	v_lshlrev_b32_e32 v82, 2, v82
	v_dual_add_f32 v73, v65, v34 :: v_dual_add_f32 v34, v34, v43
	v_fma_f32 v51, -0.5, v6, v63
	s_delay_alu instid0(VALU_DEP_4) | instskip(NEXT) | instid1(VALU_DEP_4)
	v_lshrrev_b16 v17, 9, v17
	v_add3_u32 v78, 0, v78, v82
	v_mul_f32_e32 v82, v76, v54
	v_mul_f32_e32 v54, v84, v56
	v_add_f32_e32 v56, v9, v42
	v_mul_lo_u16 v83, v17, 9
	v_add_f32_e32 v63, v72, v45
	v_dual_fmac_f32 v82, v62, v53 :: v_dual_add_f32 v43, v73, v43
	v_dual_fmac_f32 v54, v77, v55 :: v_dual_fmac_f32 v65, -0.5, v34
	s_delay_alu instid0(VALU_DEP_4)
	v_sub_nc_u16 v83, v36, v83
	v_add_f32_e32 v55, v64, v38
	v_mul_u32_u24_e32 v18, 0xe38f, v12
	v_sub_f32_e32 v62, v45, v47
	v_add_f32_e32 v45, v45, v47
	v_dual_add_f32 v68, v5, v82 :: v_dual_and_b32 v21, 0xff, v83
	s_delay_alu instid0(VALU_DEP_4) | instskip(SKIP_3) | instid1(VALU_DEP_4)
	v_lshrrev_b32_e32 v18, 19, v18
	v_add_f32_e32 v59, v71, v41
	v_dual_add_f32 v41, v41, v44 :: v_dual_add_f32 v60, v10, v66
	v_and_b32_e32 v17, 0xffff, v17
	v_mul_lo_u16 v85, v18, 9
	v_sub_f32_e32 v74, v82, v54
	v_add_f32_e32 v6, v8, v37
	v_dual_sub_f32 v53, v38, v40 :: v_dual_lshlrev_b32 v88, 5, v21
	s_delay_alu instid0(VALU_DEP_4) | instskip(SKIP_2) | instid1(VALU_DEP_3)
	v_sub_nc_u16 v83, v0, v85
	v_dual_fmac_f32 v8, -0.5, v33 :: v_dual_lshlrev_b32 v85, 2, v22
	v_dual_fmac_f32 v72, -0.5, v45 :: v_dual_add_f32 v45, v68, v54
	v_and_b32_e32 v22, 0xffff, v83
	v_dual_add_f32 v38, v38, v40 :: v_dual_add_f32 v33, v56, v46
	v_add_f32_e32 v57, v42, v46
	v_sub_f32_e32 v37, v37, v39
	v_add_f32_e32 v69, v82, v54
	v_fmamk_f32 v54, v74, 0x3f5db3d7, v65
	v_dual_fmac_f32 v65, 0xbf5db3d7, v74 :: v_dual_add_f32 v6, v6, v39
	v_add_f32_e32 v39, v55, v40
	v_fma_f32 v40, -0.5, v41, v71
	v_add_f32_e32 v41, v60, v67
	v_add_f32_e32 v61, v66, v67
	v_mul_u32_u24_e32 v15, 36, v15
	v_sub_f32_e32 v42, v42, v46
	v_fmac_f32_e32 v64, -0.5, v38
	v_fma_f32 v9, -0.5, v57, v9
	v_fmac_f32_e32 v10, -0.5, v61
	v_fmac_f32_e32 v5, -0.5, v69
	v_add3_u32 v15, 0, v15, v85
	v_sub_f32_e32 v66, v66, v67
	v_add_f32_e32 v38, v59, v44
	v_add_f32_e32 v44, v63, v47
	v_fmamk_f32 v46, v37, 0x3f5db3d7, v64
	v_dual_fmac_f32 v64, 0xbf5db3d7, v37 :: v_dual_fmamk_f32 v37, v58, 0xbf5db3d7, v9
	v_dual_add_f32 v48, v48, v81 :: v_dual_fmac_f32 v9, 0x3f5db3d7, v58
	v_fmamk_f32 v75, v50, 0xbf5db3d7, v7
	v_fmac_f32_e32 v7, 0x3f5db3d7, v50
	v_dual_fmamk_f32 v47, v42, 0x3f5db3d7, v40 :: v_dual_fmamk_f32 v50, v52, 0x3f5db3d7, v51
	v_dual_fmac_f32 v51, 0xbf5db3d7, v52 :: v_dual_fmamk_f32 v34, v53, 0xbf5db3d7, v8
	v_fmac_f32_e32 v8, 0x3f5db3d7, v53
	v_fmac_f32_e32 v40, 0xbf5db3d7, v42
	v_fmamk_f32 v42, v62, 0xbf5db3d7, v10
	v_fmac_f32_e32 v10, 0x3f5db3d7, v62
	v_fmamk_f32 v53, v70, 0xbf5db3d7, v5
	v_dual_fmac_f32 v5, 0x3f5db3d7, v70 :: v_dual_fmamk_f32 v52, v66, 0x3f5db3d7, v72
	v_fmac_f32_e32 v72, 0xbf5db3d7, v66
	ds_store_2addr_b32 v15, v48, v75 offset1:3
	ds_store_b32 v15, v7 offset:24
	ds_store_2addr_b32 v19, v6, v34 offset1:3
	ds_store_b32 v19, v8 offset:24
	;; [unrolled: 2-line block ×5, first 2 shown]
	global_wb scope:SCOPE_SE
	s_wait_dscnt 0x0
	s_barrier_signal -1
	s_barrier_wait -1
	global_inv scope:SCOPE_SE
	ds_load_2addr_b32 v[7:8], v24 offset1:135
	ds_load_2addr_b32 v[5:6], v28 offset0:14 offset1:149
	ds_load_2addr_b32 v[9:10], v27 offset0:42 offset1:177
	;; [unrolled: 1-line block ×6, first 2 shown]
	ds_load_b32 v80, v24 offset:7560
	global_wb scope:SCOPE_SE
	s_wait_dscnt 0x0
	s_barrier_signal -1
	s_barrier_wait -1
	global_inv scope:SCOPE_SE
	ds_store_2addr_b32 v15, v49, v50 offset1:3
	ds_store_b32 v15, v51 offset:24
	ds_store_2addr_b32 v19, v39, v46 offset1:3
	ds_store_b32 v19, v64 offset:24
	;; [unrolled: 2-line block ×5, first 2 shown]
	v_lshlrev_b32_e32 v15, 5, v22
	global_wb scope:SCOPE_SE
	s_wait_dscnt 0x0
	s_barrier_signal -1
	s_barrier_wait -1
	global_inv scope:SCOPE_SE
	s_clause 0x3
	global_load_b128 v[45:48], v15, s[8:9] offset:48
	global_load_b128 v[49:52], v15, s[8:9] offset:64
	;; [unrolled: 1-line block ×4, first 2 shown]
	v_sub_nc_u16 v19, v23, v87
	v_mul_u32_u24_e32 v12, 0x2d83, v12
	v_mul_u32_u24_e32 v65, 0xb4, v17
	;; [unrolled: 1-line block ×4, first 2 shown]
	v_and_b32_e32 v35, 0xffff, v19
	s_delay_alu instid0(VALU_DEP_1)
	v_lshlrev_b32_e32 v15, 5, v35
	s_clause 0x1
	global_load_b128 v[53:56], v15, s[8:9] offset:48
	global_load_b128 v[57:60], v15, s[8:9] offset:64
	v_mul_lo_u16 v15, 0x6d, v16
	ds_load_2addr_b32 v[72:73], v26 offset0:28 offset1:163
	ds_load_2addr_b32 v[70:71], v29 offset0:84 offset1:219
	v_lshlrev_b32_e32 v35, 2, v35
	v_lshrrev_b16 v16, 8, v15
	s_delay_alu instid0(VALU_DEP_2) | instskip(NEXT) | instid1(VALU_DEP_2)
	v_add3_u32 v35, 0, v75, v35
	v_sub_nc_u16 v15, v36, v16
	s_delay_alu instid0(VALU_DEP_1) | instskip(NEXT) | instid1(VALU_DEP_1)
	v_lshrrev_b16 v15, 1, v15
	v_and_b32_e32 v19, 0x7f, v15
	v_lshrrev_b32_e32 v15, 19, v12
	s_delay_alu instid0(VALU_DEP_2) | instskip(NEXT) | instid1(VALU_DEP_2)
	v_add_nc_u16 v12, v19, v16
	v_mul_lo_u16 v63, v15, 45
	v_lshrrev_b32_e32 v19, 19, v11
	s_delay_alu instid0(VALU_DEP_3) | instskip(NEXT) | instid1(VALU_DEP_3)
	v_lshrrev_b16 v16, 5, v12
	v_sub_nc_u16 v11, v0, v63
	ds_load_2addr_b32 v[63:64], v30 offset0:56 offset1:191
	v_mul_lo_u16 v12, v16, 45
	v_and_b32_e32 v17, 0xffff, v11
	s_delay_alu instid0(VALU_DEP_2)
	v_sub_nc_u16 v18, v36, v12
	ds_load_2addr_b32 v[11:12], v27 offset0:42 offset1:177
	s_wait_loadcnt_dscnt 0x503
	v_mul_f32_e32 v85, v72, v46
	s_wait_dscnt 0x0
	v_mul_f32_e32 v86, v12, v48
	v_mul_f32_e32 v48, v10, v48
	s_wait_loadcnt 0x2
	v_dual_mul_f32 v88, v71, v52 :: v_dual_mul_f32 v83, v64, v42
	v_fmac_f32_e32 v85, v66, v45
	v_fmac_f32_e32 v86, v10, v47
	v_mul_f32_e32 v82, v11, v40
	v_fma_f32 v12, v12, v47, -v48
	v_mul_f32_e32 v40, v9, v40
	v_fmac_f32_e32 v88, v62, v51
	v_mul_f32_e32 v46, v66, v46
	v_fmac_f32_e32 v82, v9, v39
	v_mul_f32_e32 v42, v34, v42
	v_fma_f32 v9, v11, v39, -v40
	v_mul_f32_e32 v11, v62, v52
	v_dual_fmac_f32 v83, v34, v41 :: v_dual_and_b32 v18, 0xff, v18
	s_delay_alu instid0(VALU_DEP_2) | instskip(SKIP_2) | instid1(VALU_DEP_1)
	v_fma_f32 v11, v71, v51, -v11
	v_mul_f32_e32 v84, v70, v44
	v_mul_f32_e32 v44, v61, v44
	v_fma_f32 v39, v70, v43, -v44
	v_lshlrev_b32_e32 v76, 2, v21
	ds_load_2addr_b32 v[20:21], v28 offset0:14 offset1:149
	v_fma_f32 v44, v72, v45, -v46
	v_add3_u32 v78, 0, v65, v76
	s_wait_dscnt 0x0
	v_mul_f32_e32 v65, v21, v38
	v_mul_f32_e32 v38, v6, v38
	s_delay_alu instid0(VALU_DEP_2) | instskip(NEXT) | instid1(VALU_DEP_2)
	v_fmac_f32_e32 v65, v6, v37
	v_fma_f32 v6, v21, v37, -v38
	v_lshlrev_b32_e32 v22, 2, v22
	s_wait_loadcnt 0x1
	v_mul_f32_e32 v21, v73, v54
	v_mul_f32_e32 v37, v67, v54
	v_sub_f32_e32 v51, v82, v65
	v_add3_u32 v79, 0, v74, v22
	ds_load_2addr_b32 v[74:75], v25 offset0:70 offset1:205
	ds_load_2addr_b32 v[76:77], v24 offset1:135
	ds_load_b32 v22, v24 offset:7560
	v_fmac_f32_e32 v21, v67, v53
	v_fma_f32 v37, v73, v53, -v37
	v_add_f32_e32 v67, v85, v88
	v_fma_f32 v34, v64, v41, -v42
	s_wait_loadcnt 0x0
	v_mul_f32_e32 v42, v69, v58
	v_add_f32_e32 v89, v5, v21
	global_wb scope:SCOPE_SE
	s_wait_dscnt 0x0
	s_barrier_signal -1
	v_sub_f32_e32 v47, v9, v34
	s_barrier_wait -1
	global_inv scope:SCOPE_SE
	v_mul_f32_e32 v87, v74, v50
	v_mul_f32_e32 v50, v68, v50
	;; [unrolled: 1-line block ×3, first 2 shown]
	v_dual_add_f32 v53, v76, v6 :: v_dual_mul_f32 v38, v63, v56
	s_delay_alu instid0(VALU_DEP_4) | instskip(NEXT) | instid1(VALU_DEP_4)
	v_fmac_f32_e32 v87, v68, v49
	v_fma_f32 v45, v74, v49, -v50
	v_sub_f32_e32 v74, v44, v12
	v_mul_f32_e32 v40, v33, v56
	v_fmac_f32_e32 v38, v33, v55
	v_dual_fmac_f32 v41, v69, v57 :: v_dual_mul_f32 v10, v80, v60
	v_sub_f32_e32 v58, v39, v34
	s_delay_alu instid0(VALU_DEP_4)
	v_fma_f32 v33, v63, v55, -v40
	v_fma_f32 v40, v75, v57, -v42
	v_sub_f32_e32 v57, v6, v9
	v_fma_f32 v10, v22, v59, -v10
	v_dual_sub_f32 v75, v11, v45 :: v_dual_fmac_f32 v84, v61, v43
	v_mul_f32_e32 v43, v22, v60
	v_sub_f32_e32 v93, v21, v38
	v_sub_f32_e32 v73, v86, v87
	v_add_f32_e32 v57, v57, v58
	v_sub_f32_e32 v72, v85, v88
	v_dual_add_f32 v70, v77, v44 :: v_dual_fmac_f32 v43, v80, v59
	v_sub_f32_e32 v63, v44, v11
	v_sub_f32_e32 v64, v12, v45
	v_add_f32_e32 v71, v12, v45
	v_dual_add_f32 v80, v44, v11 :: v_dual_sub_f32 v91, v37, v10
	v_sub_f32_e32 v44, v12, v44
	v_add_f32_e32 v12, v70, v12
	v_sub_f32_e32 v70, v40, v10
	v_dual_add_f32 v62, v86, v87 :: v_dual_add_f32 v61, v8, v85
	v_dual_sub_f32 v68, v86, v85 :: v_dual_sub_f32 v69, v87, v88
	v_add_f32_e32 v22, v7, v65
	s_delay_alu instid0(VALU_DEP_3)
	v_fma_f32 v62, -0.5, v62, v8
	v_dual_fmac_f32 v8, -0.5, v67 :: v_dual_sub_f32 v67, v10, v40
	v_sub_f32_e32 v52, v83, v84
	v_dual_sub_f32 v55, v65, v84 :: v_dual_sub_f32 v66, v88, v87
	v_add_f32_e32 v58, v20, v37
	v_add_f32_e32 v50, v65, v84
	v_dual_add_f32 v68, v68, v69 :: v_dual_add_f32 v69, v37, v10
	v_dual_add_f32 v51, v51, v52 :: v_dual_sub_f32 v48, v65, v82
	v_dual_sub_f32 v65, v85, v86 :: v_dual_add_f32 v42, v82, v83
	v_dual_add_f32 v61, v61, v86 :: v_dual_sub_f32 v46, v6, v39
	v_sub_f32_e32 v49, v84, v83
	s_delay_alu instid0(VALU_DEP_3)
	v_add_f32_e32 v65, v65, v66
	v_dual_add_f32 v59, v6, v39 :: v_dual_sub_f32 v6, v9, v6
	v_sub_f32_e32 v60, v34, v39
	v_sub_f32_e32 v66, v37, v33
	v_add_f32_e32 v54, v9, v34
	v_dual_add_f32 v9, v53, v9 :: v_dual_sub_f32 v56, v82, v83
	v_sub_f32_e32 v37, v33, v37
	v_sub_f32_e32 v92, v33, v40
	v_add_f32_e32 v90, v38, v41
	v_dual_add_f32 v48, v48, v49 :: v_dual_add_f32 v49, v21, v43
	v_add_f32_e32 v6, v6, v60
	v_add_f32_e32 v60, v33, v40
	v_fma_f32 v42, -0.5, v42, v7
	v_add_f32_e32 v33, v58, v33
	v_fma_f32 v7, -0.5, v50, v7
	v_fma_f32 v50, -0.5, v54, v76
	;; [unrolled: 1-line block ×4, first 2 shown]
	v_fmac_f32_e32 v77, -0.5, v80
	v_add_f32_e32 v9, v9, v34
	v_dual_add_f32 v34, v61, v87 :: v_dual_fmamk_f32 v61, v63, 0xbf737871, v62
	v_sub_f32_e32 v85, v45, v11
	v_sub_f32_e32 v53, v41, v43
	v_add_f32_e32 v71, v74, v75
	v_fma_f32 v74, -0.5, v90, v5
	v_fmac_f32_e32 v5, -0.5, v49
	v_dual_sub_f32 v52, v38, v21 :: v_dual_fmac_f32 v61, 0xbf167918, v64
	v_dual_sub_f32 v21, v21, v43 :: v_dual_add_f32 v22, v22, v82
	v_dual_add_f32 v33, v33, v40 :: v_dual_sub_f32 v82, v43, v41
	v_add_f32_e32 v39, v9, v39
	v_dual_add_f32 v37, v37, v70 :: v_dual_add_f32 v12, v12, v45
	v_fmamk_f32 v70, v73, 0xbf737871, v77
	v_fmac_f32_e32 v77, 0x3f737871, v73
	v_sub_f32_e32 v86, v38, v41
	v_dual_add_f32 v38, v89, v38 :: v_dual_fmac_f32 v61, 0x3e9e377a, v65
	v_fmamk_f32 v45, v72, 0x3f737871, v59
	v_fmac_f32_e32 v59, 0xbf737871, v72
	v_add_f32_e32 v75, v93, v82
	v_add_f32_e32 v49, v52, v53
	v_dual_add_f32 v38, v38, v41 :: v_dual_fmamk_f32 v41, v91, 0xbf737871, v74
	v_fmac_f32_e32 v45, 0x3f167918, v73
	v_fmac_f32_e32 v59, 0xbf167918, v73
	v_fma_f32 v52, -0.5, v60, v20
	v_fmac_f32_e32 v20, -0.5, v69
	v_fmamk_f32 v69, v56, 0xbf737871, v54
	v_fmac_f32_e32 v45, 0x3e9e377a, v71
	v_fmac_f32_e32 v54, 0x3f737871, v56
	v_fmamk_f32 v60, v47, 0x3f737871, v7
	v_fmac_f32_e32 v7, 0xbf737871, v47
	v_fmac_f32_e32 v69, 0x3f167918, v55
	;; [unrolled: 1-line block ×3, first 2 shown]
	v_fmamk_f32 v58, v46, 0xbf737871, v42
	v_fmac_f32_e32 v54, 0xbf167918, v55
	v_fmac_f32_e32 v42, 0x3f737871, v46
	v_fmamk_f32 v76, v92, 0x3f737871, v5
	v_fmac_f32_e32 v5, 0xbf737871, v92
	v_fmac_f32_e32 v62, 0x3f737871, v63
	;; [unrolled: 1-line block ×5, first 2 shown]
	v_add_f32_e32 v46, v12, v11
	v_fmac_f32_e32 v41, 0x3e9e377a, v75
	v_add_f32_e32 v11, v38, v43
	v_dual_add_f32 v53, v66, v67 :: v_dual_fmamk_f32 v66, v64, 0x3f737871, v8
	v_fmac_f32_e32 v8, 0xbf737871, v64
	v_dual_add_f32 v44, v44, v85 :: v_dual_fmac_f32 v69, 0x3e9e377a, v6
	v_fmamk_f32 v67, v55, 0x3f737871, v50
	v_fmac_f32_e32 v74, 0x3f737871, v91
	v_dual_fmac_f32 v58, 0xbf167918, v47 :: v_dual_fmac_f32 v77, 0xbf167918, v72
	v_add_f32_e32 v22, v22, v83
	v_fmac_f32_e32 v54, 0x3e9e377a, v6
	v_mul_lo_u16 v6, v19, 45
	v_fmac_f32_e32 v42, 0x3f167918, v47
	v_dual_fmac_f32 v5, 0x3f167918, v91 :: v_dual_fmac_f32 v62, 0x3f167918, v64
	v_fmac_f32_e32 v66, 0xbf167918, v63
	v_fmac_f32_e32 v8, 0x3f167918, v63
	;; [unrolled: 1-line block ×3, first 2 shown]
	v_fmamk_f32 v80, v86, 0xbf737871, v20
	v_fmac_f32_e32 v20, 0x3f737871, v86
	v_fmac_f32_e32 v67, 0x3f167918, v56
	;; [unrolled: 1-line block ×6, first 2 shown]
	v_sub_nc_u16 v6, v23, v6
	v_add_f32_e32 v22, v22, v84
	v_fmac_f32_e32 v60, 0x3e9e377a, v51
	v_fmac_f32_e32 v7, 0x3e9e377a, v51
	v_fmamk_f32 v40, v21, 0x3f737871, v52
	v_fmac_f32_e32 v42, 0x3e9e377a, v48
	v_fmac_f32_e32 v52, 0xbf737871, v21
	;; [unrolled: 1-line block ×3, first 2 shown]
	v_dual_add_f32 v9, v34, v88 :: v_dual_fmac_f32 v62, 0x3e9e377a, v65
	v_fmac_f32_e32 v66, 0x3e9e377a, v68
	v_fmac_f32_e32 v8, 0x3e9e377a, v68
	v_dual_add_f32 v38, v33, v10 :: v_dual_and_b32 v71, 0xffff, v16
	v_fmac_f32_e32 v80, 0x3f167918, v21
	v_fmac_f32_e32 v20, 0xbf167918, v21
	;; [unrolled: 1-line block ×4, first 2 shown]
	ds_store_2addr_b32 v78, v22, v58 offset1:9
	ds_store_2addr_b32 v78, v60, v7 offset0:18 offset1:27
	ds_store_b32 v78, v42 offset:144
	ds_store_2addr_b32 v79, v9, v61 offset1:9
	ds_store_2addr_b32 v79, v66, v8 offset0:18 offset1:27
	ds_store_b32 v79, v62 offset:144
	;; [unrolled: 3-line block ×3, first 2 shown]
	global_wb scope:SCOPE_SE
	s_wait_dscnt 0x0
	s_barrier_signal -1
	s_barrier_wait -1
	global_inv scope:SCOPE_SE
	ds_load_2addr_b32 v[11:12], v24 offset1:135
	ds_load_2addr_b32 v[9:10], v28 offset0:14 offset1:149
	ds_load_2addr_b32 v[21:22], v27 offset0:42 offset1:177
	;; [unrolled: 1-line block ×6, first 2 shown]
	ds_load_b32 v82, v24 offset:7560
	v_fmac_f32_e32 v50, 0xbf167918, v56
	v_fmac_f32_e32 v70, 0x3f167918, v72
	;; [unrolled: 1-line block ×3, first 2 shown]
	v_lshlrev_b32_e32 v81, 5, v18
	v_fmac_f32_e32 v52, 0xbf167918, v86
	v_fmac_f32_e32 v67, 0x3e9e377a, v57
	;; [unrolled: 1-line block ×5, first 2 shown]
	v_lshlrev_b32_e32 v5, 5, v17
	v_fmac_f32_e32 v52, 0x3e9e377a, v53
	v_fmac_f32_e32 v80, 0x3e9e377a, v37
	;; [unrolled: 1-line block ×3, first 2 shown]
	global_wb scope:SCOPE_SE
	s_wait_dscnt 0x0
	s_barrier_signal -1
	s_barrier_wait -1
	global_inv scope:SCOPE_SE
	ds_store_2addr_b32 v78, v39, v67 offset1:9
	ds_store_2addr_b32 v78, v69, v54 offset0:18 offset1:27
	ds_store_b32 v78, v50 offset:144
	ds_store_2addr_b32 v79, v46, v45 offset1:9
	ds_store_2addr_b32 v79, v70, v77 offset0:18 offset1:27
	ds_store_b32 v79, v59 offset:144
	;; [unrolled: 3-line block ×3, first 2 shown]
	global_wb scope:SCOPE_SE
	s_wait_dscnt 0x0
	s_barrier_signal -1
	s_barrier_wait -1
	global_inv scope:SCOPE_SE
	s_clause 0x3
	global_load_b128 v[37:40], v81, s[8:9] offset:336
	global_load_b128 v[41:44], v81, s[8:9] offset:352
	;; [unrolled: 1-line block ×4, first 2 shown]
	v_dual_mov_b32 v6, 0 :: v_dual_and_b32 v35, 0xffff, v6
	v_add_nc_u32_e32 v20, 0xffffffa6, v36
	v_mul_u32_u24_e32 v73, 0x384, v15
	v_mul_u32_u24_e32 v74, 0x384, v19
	s_delay_alu instid0(VALU_DEP_4)
	v_lshlrev_b32_e32 v5, 5, v35
	s_clause 0x1
	global_load_b128 v[53:56], v5, s[8:9] offset:336
	global_load_b128 v[57:60], v5, s[8:9] offset:352
	v_lshlrev_b32_e32 v5, 1, v36
	s_wait_alu 0xf1ff
	v_cndmask_b32_e64 v77, v20, v0, s0
	v_mul_u32_u24_e32 v79, 0x384, v71
	ds_load_2addr_b32 v[71:72], v29 offset0:84 offset1:219
	v_lshlrev_b32_e32 v35, 2, v35
	v_lshlrev_b64_e32 v[7:8], 3, v[5:6]
	v_add_nc_u32_e32 v5, 0x5a, v5
	v_lshlrev_b32_e32 v67, 1, v77
	v_lshlrev_b32_e32 v80, 2, v18
	v_add3_u32 v35, 0, v74, v35
	s_delay_alu instid0(VALU_DEP_4) | instskip(SKIP_4) | instid1(VALU_DEP_4)
	v_lshlrev_b64_e32 v[69:70], 3, v[5:6]
	v_mul_u32_u24_e32 v5, 0x91a3, v13
	v_mul_u32_u24_e32 v13, 0x91a3, v14
	v_add3_u32 v79, 0, v79, v80
	v_add_co_u32 v7, s0, s8, v7
	v_lshrrev_b32_e32 v5, 23, v5
	s_delay_alu instid0(VALU_DEP_4) | instskip(SKIP_2) | instid1(VALU_DEP_3)
	v_lshrrev_b32_e32 v20, 23, v13
	s_wait_alu 0xf1ff
	v_add_co_ci_u32_e64 v8, s0, s9, v8, s0
	v_mul_lo_u16 v15, 0xe1, v5
	s_delay_alu instid0(VALU_DEP_3) | instskip(SKIP_1) | instid1(VALU_DEP_3)
	v_mul_lo_u16 v19, 0xe1, v20
	v_mul_u32_u24_e32 v5, 0xa8c, v5
	v_sub_nc_u16 v75, v31, v15
	s_delay_alu instid0(VALU_DEP_3)
	v_sub_nc_u16 v78, v32, v19
	ds_load_2addr_b32 v[15:16], v28 offset0:14 offset1:149
	ds_load_2addr_b32 v[19:20], v27 offset0:42 offset1:177
	s_wait_loadcnt_dscnt 0x501
	v_dual_mul_f32 v84, v16, v38 :: v_dual_and_b32 v81, 0xffff, v75
	s_wait_dscnt 0x0
	v_dual_mul_f32 v38, v10, v38 :: v_dual_mul_f32 v85, v19, v40
	v_mul_f32_e32 v40, v21, v40
	s_wait_loadcnt 0x4
	v_dual_mul_f32 v87, v71, v44 :: v_dual_fmac_f32 v84, v10, v37
	s_delay_alu instid0(VALU_DEP_3)
	v_fma_f32 v10, v16, v37, -v38
	v_mul_f32_e32 v44, v61, v44
	v_fma_f32 v16, v19, v39, -v40
	s_wait_loadcnt 0x3
	v_mul_f32_e32 v19, v22, v48
	v_fmac_f32_e32 v85, v21, v39
	v_fmac_f32_e32 v87, v61, v43
	v_fma_f32 v39, v71, v43, -v44
	s_wait_loadcnt 0x2
	v_mul_f32_e32 v37, v65, v50
	v_fma_f32 v19, v20, v47, -v19
	v_dual_mov_b32 v68, v6 :: v_dual_mul_f32 v89, v20, v48
	v_mul_f32_e32 v38, v72, v52
	s_delay_alu instid0(VALU_DEP_2)
	v_lshlrev_b64_e32 v[13:14], 3, v[67:68]
	ds_load_2addr_b32 v[67:68], v30 offset0:56 offset1:191
	v_fmac_f32_e32 v89, v22, v47
	v_fmac_f32_e32 v38, v62, v51
	v_add_co_u32 v13, s0, s8, v13
	s_wait_alu 0xf1ff
	v_add_co_ci_u32_e64 v14, s0, s9, v14, s0
	s_wait_loadcnt_dscnt 0x100
	v_mul_f32_e32 v43, v67, v56
	s_delay_alu instid0(VALU_DEP_1)
	v_dual_fmac_f32 v43, v33, v55 :: v_dual_lshlrev_b32 v76, 2, v17
	ds_load_2addr_b32 v[17:18], v26 offset0:28 offset1:163
	v_add3_u32 v83, 0, v73, v76
	ds_load_2addr_b32 v[73:74], v24 offset1:135
	ds_load_2addr_b32 v[75:76], v25 offset0:70 offset1:205
	ds_load_b32 v80, v24 offset:7560
	global_wb scope:SCOPE_SE
	s_wait_loadcnt_dscnt 0x0
	s_barrier_signal -1
	s_barrier_wait -1
	global_inv scope:SCOPE_SE
	v_mul_f32_e32 v88, v17, v46
	v_mul_f32_e32 v44, v76, v58
	v_fma_f32 v37, v75, v49, -v37
	v_mul_f32_e32 v21, v75, v50
	s_delay_alu instid0(VALU_DEP_4) | instskip(NEXT) | instid1(VALU_DEP_4)
	v_dual_mul_f32 v47, v80, v60 :: v_dual_fmac_f32 v88, v63, v45
	v_fmac_f32_e32 v44, v66, v57
	s_delay_alu instid0(VALU_DEP_3) | instskip(NEXT) | instid1(VALU_DEP_3)
	v_dual_mul_f32 v20, v66, v58 :: v_dual_fmac_f32 v21, v65, v49
	v_dual_fmac_f32 v47, v82, v59 :: v_dual_sub_f32 v66, v88, v89
	v_mul_f32_e32 v40, v62, v52
	s_delay_alu instid0(VALU_DEP_3) | instskip(SKIP_2) | instid1(VALU_DEP_4)
	v_fma_f32 v20, v76, v57, -v20
	v_add_f32_e32 v76, v19, v37
	v_dual_sub_f32 v65, v19, v37 :: v_dual_sub_f32 v58, v10, v16
	v_fma_f32 v40, v72, v51, -v40
	v_sub_f32_e32 v72, v21, v38
	s_delay_alu instid0(VALU_DEP_4) | instskip(SKIP_4) | instid1(VALU_DEP_4)
	v_fma_f32 v76, -0.5, v76, v74
	v_mul_f32_e32 v22, v33, v56
	v_dual_sub_f32 v56, v84, v87 :: v_dual_sub_f32 v71, v89, v88
	v_sub_f32_e32 v49, v84, v85
	v_add_f32_e32 v51, v84, v87
	v_fma_f32 v22, v67, v55, -v22
	v_sub_f32_e32 v67, v38, v21
	v_add_f32_e32 v71, v71, v72
	v_sub_f32_e32 v91, v37, v40
	s_delay_alu instid0(VALU_DEP_4) | instskip(NEXT) | instid1(VALU_DEP_4)
	v_add_f32_e32 v72, v22, v20
	v_add_f32_e32 v66, v66, v67
	v_sub_f32_e32 v67, v44, v47
	v_mul_f32_e32 v86, v68, v42
	v_mul_f32_e32 v42, v34, v42
	s_delay_alu instid0(VALU_DEP_2) | instskip(NEXT) | instid1(VALU_DEP_2)
	v_fmac_f32_e32 v86, v34, v41
	v_fma_f32 v34, v68, v41, -v42
	v_mul_f32_e32 v41, v18, v54
	s_delay_alu instid0(VALU_DEP_2) | instskip(NEXT) | instid1(VALU_DEP_2)
	v_add_f32_e32 v55, v16, v34
	v_fmac_f32_e32 v41, v64, v53
	v_dual_sub_f32 v48, v16, v34 :: v_dual_sub_f32 v61, v34, v39
	s_delay_alu instid0(VALU_DEP_3) | instskip(SKIP_1) | instid1(VALU_DEP_1)
	v_fma_f32 v55, -0.5, v55, v73
	v_dual_mul_f32 v46, v63, v46 :: v_dual_add_f32 v63, v89, v21
	v_fma_f32 v17, v17, v45, -v46
	v_dual_mul_f32 v45, v82, v60 :: v_dual_sub_f32 v82, v89, v21
	v_add_f32_e32 v62, v12, v88
	v_add_f32_e32 v60, v10, v39
	v_sub_f32_e32 v46, v10, v39
	v_sub_f32_e32 v52, v85, v84
	v_fma_f32 v63, -0.5, v63, v12
	v_add_f32_e32 v62, v62, v89
	v_mul_f32_e32 v42, v64, v54
	v_add_f32_e32 v54, v73, v10
	v_fma_f32 v60, -0.5, v60, v73
	v_fmamk_f32 v73, v56, 0x3f737871, v55
	v_fmac_f32_e32 v55, 0xbf737871, v56
	v_sub_f32_e32 v57, v85, v86
	v_add_f32_e32 v21, v62, v21
	v_fma_f32 v18, v18, v53, -v42
	v_dual_sub_f32 v53, v86, v87 :: v_dual_sub_f32 v10, v16, v10
	s_delay_alu instid0(VALU_DEP_4) | instskip(SKIP_1) | instid1(VALU_DEP_3)
	v_dual_fmac_f32 v55, 0xbf167918, v57 :: v_dual_add_f32 v16, v54, v16
	v_fma_f32 v33, v80, v59, -v45
	v_dual_add_f32 v52, v52, v53 :: v_dual_sub_f32 v53, v22, v20
	v_dual_sub_f32 v64, v17, v40 :: v_dual_sub_f32 v59, v39, v34
	s_delay_alu instid0(VALU_DEP_4) | instskip(SKIP_2) | instid1(VALU_DEP_4)
	v_add_f32_e32 v16, v16, v34
	v_sub_f32_e32 v54, v41, v43
	v_add_f32_e32 v10, v10, v61
	v_fmamk_f32 v34, v64, 0xbf737871, v63
	v_fmac_f32_e32 v63, 0x3f737871, v64
	v_add_f32_e32 v61, v41, v47
	v_sub_f32_e32 v89, v43, v41
	v_add_f32_e32 v45, v85, v86
	v_dual_sub_f32 v50, v87, v86 :: v_dual_fmac_f32 v73, 0x3f167918, v57
	v_fmac_f32_e32 v63, 0x3f167918, v65
	v_add_f32_e32 v92, v9, v41
	v_dual_sub_f32 v41, v41, v47 :: v_dual_add_f32 v42, v11, v84
	v_add_f32_e32 v75, v74, v17
	v_dual_add_f32 v58, v58, v59 :: v_dual_sub_f32 v59, v47, v44
	v_fma_f32 v45, -0.5, v45, v11
	s_delay_alu instid0(VALU_DEP_4)
	v_dual_add_f32 v42, v42, v85 :: v_dual_add_f32 v85, v43, v44
	v_fma_f32 v11, -0.5, v51, v11
	v_add_f32_e32 v90, v17, v40
	v_add_f32_e32 v49, v49, v50
	v_sub_f32_e32 v84, v17, v19
	v_fma_f32 v51, -0.5, v85, v9
	v_fmac_f32_e32 v9, -0.5, v61
	v_fma_f32 v61, -0.5, v72, v15
	v_sub_f32_e32 v17, v19, v17
	v_add_f32_e32 v19, v75, v19
	v_add_f32_e32 v54, v54, v59
	v_dual_sub_f32 v50, v18, v33 :: v_dual_add_f32 v59, v89, v67
	v_fmamk_f32 v89, v41, 0x3f737871, v61
	v_sub_f32_e32 v75, v43, v44
	v_fmac_f32_e32 v63, 0x3e9e377a, v66
	v_add_f32_e32 v43, v92, v43
	v_add_f32_e32 v17, v17, v91
	v_dual_add_f32 v91, v18, v33 :: v_dual_fmac_f32 v74, -0.5, v90
	v_sub_f32_e32 v90, v33, v20
	s_delay_alu instid0(VALU_DEP_4) | instskip(SKIP_4) | instid1(VALU_DEP_3)
	v_dual_add_f32 v43, v43, v44 :: v_dual_fmamk_f32 v44, v50, 0xbf737871, v51
	v_fmac_f32_e32 v51, 0x3f737871, v50
	v_dual_add_f32 v68, v88, v38 :: v_dual_fmac_f32 v89, 0x3f167918, v75
	v_sub_f32_e32 v80, v88, v38
	v_dual_sub_f32 v88, v40, v37 :: v_dual_fmac_f32 v55, 0x3e9e377a, v58
	v_fmac_f32_e32 v12, -0.5, v68
	v_dual_add_f32 v68, v15, v18 :: v_dual_fmac_f32 v15, -0.5, v91
	s_delay_alu instid0(VALU_DEP_3) | instskip(SKIP_2) | instid1(VALU_DEP_4)
	v_add_f32_e32 v84, v84, v88
	v_dual_sub_f32 v88, v18, v22 :: v_dual_add_f32 v19, v19, v37
	v_sub_f32_e32 v18, v22, v18
	v_add_f32_e32 v22, v68, v22
	s_delay_alu instid0(VALU_DEP_3)
	v_dual_fmamk_f32 v68, v46, 0xbf737871, v45 :: v_dual_add_f32 v67, v88, v90
	v_fmamk_f32 v90, v75, 0xbf737871, v15
	v_fmac_f32_e32 v15, 0x3f737871, v75
	v_fmac_f32_e32 v73, 0x3e9e377a, v58
	;; [unrolled: 1-line block ×3, first 2 shown]
	v_fmamk_f32 v72, v48, 0x3f737871, v11
	v_fmac_f32_e32 v11, 0xbf737871, v48
	v_fmac_f32_e32 v15, 0xbf167918, v41
	v_dual_fmamk_f32 v37, v80, 0x3f737871, v76 :: v_dual_fmamk_f32 v88, v53, 0x3f737871, v9
	v_fmac_f32_e32 v9, 0xbf737871, v53
	v_fmac_f32_e32 v51, 0x3f167918, v53
	v_fmamk_f32 v62, v65, 0x3f737871, v12
	s_delay_alu instid0(VALU_DEP_4)
	v_fmac_f32_e32 v37, 0x3f167918, v82
	v_fmac_f32_e32 v12, 0xbf737871, v65
	;; [unrolled: 1-line block ×5, first 2 shown]
	v_dual_fmac_f32 v37, 0x3e9e377a, v84 :: v_dual_add_f32 v42, v42, v86
	v_fmac_f32_e32 v11, 0x3f167918, v46
	v_fmac_f32_e32 v51, 0x3e9e377a, v54
	;; [unrolled: 1-line block ×6, first 2 shown]
	v_sub_f32_e32 v92, v20, v33
	v_add_f32_e32 v20, v22, v20
	v_add_f32_e32 v22, v42, v87
	v_fmac_f32_e32 v44, 0xbf167918, v53
	v_fmac_f32_e32 v88, 0xbf167918, v50
	v_dual_fmac_f32 v68, 0x3e9e377a, v49 :: v_dual_fmac_f32 v9, 0x3e9e377a, v59
	v_fmac_f32_e32 v72, 0x3e9e377a, v52
	v_fmac_f32_e32 v11, 0x3e9e377a, v52
	v_fmamk_f32 v85, v57, 0xbf737871, v60
	v_fmac_f32_e32 v60, 0x3f737871, v57
	v_fmac_f32_e32 v61, 0xbf737871, v41
	v_fmac_f32_e32 v45, 0x3e9e377a, v49
	v_add_f32_e32 v21, v21, v38
	v_fmac_f32_e32 v34, 0x3e9e377a, v66
	v_fmac_f32_e32 v62, 0x3e9e377a, v71
	;; [unrolled: 1-line block ×3, first 2 shown]
	v_fmamk_f32 v86, v82, 0xbf737871, v74
	v_add_f32_e32 v38, v43, v47
	v_add_f32_e32 v20, v20, v33
	v_fmac_f32_e32 v44, 0x3e9e377a, v54
	v_fmac_f32_e32 v88, 0x3e9e377a, v59
	ds_store_2addr_b32 v79, v22, v68 offset1:45
	ds_store_2addr_b32 v79, v72, v11 offset0:90 offset1:135
	ds_store_b32 v79, v45 offset:720
	ds_store_2addr_b32 v83, v21, v34 offset1:45
	ds_store_2addr_b32 v83, v62, v12 offset0:90 offset1:135
	ds_store_b32 v83, v63 offset:720
	;; [unrolled: 3-line block ×3, first 2 shown]
	global_wb scope:SCOPE_SE
	s_wait_dscnt 0x0
	s_barrier_signal -1
	s_barrier_wait -1
	global_inv scope:SCOPE_SE
	ds_load_2addr_b32 v[21:22], v24 offset1:135
	ds_load_2addr_b32 v[33:34], v26 offset0:28 offset1:163
	ds_load_2addr_b32 v[45:46], v25 offset0:70 offset1:205
	ds_load_2addr_b32 v[47:48], v27 offset0:42 offset1:177
	ds_load_2addr_b32 v[49:50], v28 offset0:14 offset1:149
	ds_load_2addr_b32 v[51:52], v29 offset0:84 offset1:219
	ds_load_2addr_b32 v[53:54], v30 offset0:56 offset1:191
	ds_load_b32 v71, v24 offset:7560
	v_fmac_f32_e32 v74, 0x3f737871, v82
	v_fmac_f32_e32 v76, 0xbf737871, v80
	;; [unrolled: 1-line block ×3, first 2 shown]
	v_dual_fmac_f32 v60, 0xbf167918, v56 :: v_dual_fmac_f32 v61, 0xbf167918, v75
	v_fmac_f32_e32 v86, 0x3f167918, v80
	v_fmac_f32_e32 v74, 0xbf167918, v80
	v_add_f32_e32 v18, v18, v92
	v_add_f32_e32 v16, v16, v39
	v_fmac_f32_e32 v76, 0xbf167918, v82
	v_fmac_f32_e32 v90, 0x3f167918, v41
	;; [unrolled: 1-line block ×4, first 2 shown]
	v_dual_fmac_f32 v60, 0x3e9e377a, v10 :: v_dual_add_f32 v19, v19, v40
	v_fmac_f32_e32 v86, 0x3e9e377a, v17
	v_fmac_f32_e32 v74, 0x3e9e377a, v17
	v_dual_fmac_f32 v76, 0x3e9e377a, v84 :: v_dual_fmac_f32 v89, 0x3e9e377a, v67
	v_fmac_f32_e32 v90, 0x3e9e377a, v18
	v_fmac_f32_e32 v15, 0x3e9e377a, v18
	global_wb scope:SCOPE_SE
	s_wait_dscnt 0x0
	s_barrier_signal -1
	s_barrier_wait -1
	global_inv scope:SCOPE_SE
	ds_store_2addr_b32 v79, v16, v73 offset1:45
	ds_store_2addr_b32 v79, v85, v60 offset0:90 offset1:135
	ds_store_b32 v79, v55 offset:720
	ds_store_2addr_b32 v83, v19, v37 offset1:45
	ds_store_2addr_b32 v83, v86, v74 offset0:90 offset1:135
	ds_store_b32 v83, v76 offset:720
	;; [unrolled: 3-line block ×3, first 2 shown]
	v_and_b32_e32 v35, 0xffff, v78
	v_add_co_u32 v17, s0, s8, v69
	s_wait_alu 0xf1ff
	v_add_co_ci_u32_e64 v18, s0, s9, v70, s0
	v_lshlrev_b32_e32 v37, 4, v81
	v_lshlrev_b32_e32 v41, 4, v35
	global_wb scope:SCOPE_SE
	s_wait_dscnt 0x0
	s_barrier_signal -1
	s_barrier_wait -1
	global_inv scope:SCOPE_SE
	s_clause 0x4
	global_load_b128 v[9:12], v[7:8], off offset:1776
	global_load_b128 v[13:16], v[13:14], off offset:1776
	;; [unrolled: 1-line block ×3, first 2 shown]
	global_load_b128 v[37:40], v37, s[8:9] offset:1776
	global_load_b128 v[41:44], v41, s[8:9] offset:1776
	v_cmp_lt_u32_e64 s0, 0x59, v36
	v_lshlrev_b32_e32 v62, 2, v77
	v_lshlrev_b32_e32 v63, 2, v81
	ds_load_2addr_b32 v[55:56], v26 offset0:28 offset1:163
	ds_load_2addr_b32 v[57:58], v25 offset0:70 offset1:205
	s_wait_alu 0xf1ff
	v_cndmask_b32_e64 v61, 0, 0xa8c, s0
	ds_load_2addr_b32 v[59:60], v27 offset0:42 offset1:177
	v_add3_u32 v5, 0, v5, v63
	v_lshl_add_u32 v69, v36, 2, 0
	v_lshl_add_u32 v35, v35, 2, 0
	v_add3_u32 v72, 0, v61, v62
	ds_load_2addr_b32 v[61:62], v29 offset0:84 offset1:219
	ds_load_2addr_b32 v[63:64], v30 offset0:56 offset1:191
	ds_load_2addr_b32 v[65:66], v24 offset1:135
	ds_load_2addr_b32 v[67:68], v28 offset0:14 offset1:149
	ds_load_b32 v74, v24 offset:7560
	v_add_nc_u32_e32 v70, 0xb00, v69
	v_add_nc_u32_e32 v73, 0x1500, v35
	global_wb scope:SCOPE_SE
	s_wait_loadcnt_dscnt 0x0
	s_barrier_signal -1
	s_barrier_wait -1
	global_inv scope:SCOPE_SE
	v_mul_f32_e32 v75, v56, v10
	v_mul_f32_e32 v77, v59, v14
	v_dual_mul_f32 v81, v63, v38 :: v_dual_mul_f32 v82, v62, v40
	v_mul_f32_e32 v80, v61, v20
	v_mul_f32_e32 v40, v52, v40
	s_delay_alu instid0(VALU_DEP_3) | instskip(NEXT) | instid1(VALU_DEP_4)
	v_dual_mul_f32 v20, v51, v20 :: v_dual_fmac_f32 v81, v53, v37
	v_fmac_f32_e32 v82, v52, v39
	s_delay_alu instid0(VALU_DEP_4) | instskip(SKIP_1) | instid1(VALU_DEP_3)
	v_dual_fmac_f32 v80, v51, v19 :: v_dual_fmac_f32 v75, v34, v9
	v_mul_f32_e32 v78, v58, v16
	v_dual_add_f32 v51, v50, v81 :: v_dual_add_f32 v52, v81, v82
	v_mul_f32_e32 v14, v47, v14
	v_dual_mul_f32 v16, v46, v16 :: v_dual_mul_f32 v79, v60, v18
	s_delay_alu instid0(VALU_DEP_3) | instskip(SKIP_4) | instid1(VALU_DEP_4)
	v_dual_mul_f32 v83, v64, v42 :: v_dual_fmac_f32 v50, -0.5, v52
	v_mul_f32_e32 v10, v34, v10
	v_mul_f32_e32 v84, v74, v44
	;; [unrolled: 1-line block ×3, first 2 shown]
	v_dual_mul_f32 v38, v53, v38 :: v_dual_fmac_f32 v77, v47, v13
	v_fma_f32 v9, v56, v9, -v10
	v_sub_f32_e32 v56, v81, v82
	v_mul_f32_e32 v76, v57, v12
	v_mul_f32_e32 v12, v45, v12
	v_fmac_f32_e32 v78, v46, v15
	v_mul_f32_e32 v42, v54, v42
	v_mul_f32_e32 v44, v71, v44
	v_fmac_f32_e32 v76, v45, v11
	v_fma_f32 v10, v57, v11, -v12
	v_fma_f32 v11, v59, v13, -v14
	;; [unrolled: 1-line block ×3, first 2 shown]
	v_fmac_f32_e32 v79, v48, v17
	v_dual_fmac_f32 v83, v54, v41 :: v_dual_fmac_f32 v84, v71, v43
	v_fma_f32 v13, v60, v17, -v18
	v_fma_f32 v14, v61, v19, -v20
	v_add_f32_e32 v20, v75, v76
	v_fma_f32 v15, v63, v37, -v38
	v_fma_f32 v16, v62, v39, -v40
	v_add_f32_e32 v40, v77, v78
	v_fma_f32 v17, v64, v41, -v42
	v_fma_f32 v18, v74, v43, -v44
	v_dual_sub_f32 v41, v11, v12 :: v_dual_add_f32 v42, v66, v11
	v_add_f32_e32 v11, v11, v12
	v_add_f32_e32 v45, v79, v80
	v_dual_add_f32 v58, v83, v84 :: v_dual_add_f32 v19, v21, v75
	v_dual_sub_f32 v34, v9, v10 :: v_dual_add_f32 v47, v67, v13
	v_fma_f32 v20, -0.5, v20, v21
	v_add_f32_e32 v37, v65, v9
	v_add_f32_e32 v9, v9, v10
	;; [unrolled: 1-line block ×3, first 2 shown]
	v_dual_sub_f32 v53, v15, v16 :: v_dual_add_f32 v54, v68, v15
	v_add_f32_e32 v15, v15, v16
	v_fmac_f32_e32 v22, -0.5, v40
	v_add_f32_e32 v44, v49, v79
	v_sub_f32_e32 v46, v13, v14
	v_add_f32_e32 v13, v13, v14
	v_add_f32_e32 v57, v33, v83
	v_dual_sub_f32 v59, v17, v18 :: v_dual_add_f32 v60, v55, v17
	v_dual_add_f32 v17, v17, v18 :: v_dual_fmac_f32 v66, -0.5, v11
	v_fma_f32 v11, -0.5, v45, v49
	v_fmac_f32_e32 v33, -0.5, v58
	v_add_f32_e32 v19, v19, v76
	v_add_f32_e32 v40, v47, v14
	v_fmamk_f32 v14, v34, 0xbf5db3d7, v20
	v_fmac_f32_e32 v20, 0x3f5db3d7, v34
	v_fma_f32 v62, -0.5, v9, v65
	v_dual_add_f32 v9, v39, v78 :: v_dual_fmac_f32 v68, -0.5, v15
	v_fmamk_f32 v15, v41, 0xbf5db3d7, v22
	v_dual_fmac_f32 v22, 0x3f5db3d7, v41 :: v_dual_add_f32 v37, v37, v10
	v_add_f32_e32 v39, v42, v12
	v_add_f32_e32 v10, v44, v80
	v_fma_f32 v42, -0.5, v13, v67
	v_add_f32_e32 v12, v51, v82
	v_add_f32_e32 v44, v54, v16
	;; [unrolled: 1-line block ×4, first 2 shown]
	v_fmac_f32_e32 v55, -0.5, v17
	v_fmamk_f32 v16, v46, 0xbf5db3d7, v11
	v_fmac_f32_e32 v11, 0x3f5db3d7, v46
	v_dual_fmamk_f32 v17, v53, 0xbf5db3d7, v50 :: v_dual_fmamk_f32 v18, v59, 0xbf5db3d7, v33
	v_dual_fmac_f32 v33, 0x3f5db3d7, v59 :: v_dual_fmac_f32 v50, 0x3f5db3d7, v53
	ds_store_2addr_b32 v24, v19, v14 offset1:225
	ds_store_b32 v24, v20 offset:1800
	ds_store_2addr_b32 v72, v9, v15 offset1:225
	ds_store_b32 v72, v22 offset:1800
	ds_store_2addr_b32 v70, v10, v16 offset0:16 offset1:241
	ds_store_b32 v69, v11 offset:4680
	ds_store_2addr_b32 v5, v12, v17 offset1:225
	ds_store_b32 v5, v50 offset:1800
	ds_store_2addr_b32 v73, v13, v18 offset0:6 offset1:231
	ds_store_b32 v35, v33 offset:7200
	global_wb scope:SCOPE_SE
	s_wait_dscnt 0x0
	s_barrier_signal -1
	s_barrier_wait -1
	global_inv scope:SCOPE_SE
	ds_load_2addr_b32 v[9:10], v24 offset1:135
	ds_load_2addr_b32 v[19:20], v26 offset0:28 offset1:163
	ds_load_2addr_b32 v[13:14], v25 offset0:70 offset1:205
	;; [unrolled: 1-line block ×6, first 2 shown]
	ds_load_b32 v33, v24 offset:7560
	v_dual_sub_f32 v38, v75, v76 :: v_dual_sub_f32 v43, v77, v78
	v_sub_f32_e32 v48, v79, v80
	v_sub_f32_e32 v61, v83, v84
	global_wb scope:SCOPE_SE
	s_wait_dscnt 0x0
	v_fmamk_f32 v34, v38, 0x3f5db3d7, v62
	v_fmac_f32_e32 v62, 0xbf5db3d7, v38
	v_fmamk_f32 v38, v43, 0x3f5db3d7, v66
	v_fmac_f32_e32 v66, 0xbf5db3d7, v43
	;; [unrolled: 2-line block ×5, first 2 shown]
	s_barrier_signal -1
	s_barrier_wait -1
	global_inv scope:SCOPE_SE
	ds_store_2addr_b32 v24, v37, v34 offset1:225
	ds_store_b32 v24, v62 offset:1800
	ds_store_2addr_b32 v72, v39, v38 offset1:225
	ds_store_b32 v72, v66 offset:1800
	ds_store_2addr_b32 v70, v40, v41 offset0:16 offset1:241
	ds_store_b32 v69, v42 offset:4680
	ds_store_2addr_b32 v5, v44, v43 offset1:225
	ds_store_b32 v5, v68 offset:1800
	ds_store_2addr_b32 v73, v45, v46 offset0:6 offset1:231
	ds_store_b32 v35, v55 offset:7200
	global_wb scope:SCOPE_SE
	s_wait_dscnt 0x0
	s_barrier_signal -1
	s_barrier_wait -1
	global_inv scope:SCOPE_SE
	s_and_saveexec_b32 s0, vcc_lo
	s_cbranch_execz .LBB0_15
; %bb.14:
	v_lshlrev_b32_e32 v5, 1, v32
	v_dual_mov_b32 v61, v6 :: v_dual_add_nc_u32 v64, 0x195, v36
	v_mov_b32_e32 v60, v6
	v_mov_b32_e32 v62, v6
	s_delay_alu instid0(VALU_DEP_4) | instskip(SKIP_2) | instid1(VALU_DEP_3)
	v_lshlrev_b64_e32 v[34:35], 3, v[5:6]
	v_lshlrev_b32_e32 v5, 1, v31
	v_mul_hi_u32 v68, 0xc22e4507, v64
	v_add_co_u32 v31, vcc_lo, s8, v34
	s_wait_alu 0xfffd
	s_delay_alu instid0(VALU_DEP_4)
	v_add_co_ci_u32_e32 v32, vcc_lo, s9, v35, vcc_lo
	v_lshlrev_b64_e32 v[34:35], 3, v[5:6]
	v_lshlrev_b32_e32 v5, 1, v23
	v_lshrrev_b32_e32 v73, 9, v68
	s_clause 0x1
	global_load_b128 v[37:40], v[31:32], off offset:5376
	global_load_b128 v[41:44], v[7:8], off offset:5376
	v_mul_lo_u32 v32, s2, v4
	v_add_nc_u32_e32 v63, 0x10e, v36
	v_add_co_u32 v7, vcc_lo, s8, v34
	s_wait_alu 0xfffd
	v_add_co_ci_u32_e32 v8, vcc_lo, s9, v35, vcc_lo
	s_delay_alu instid0(VALU_DEP_3)
	v_mul_hi_u32 v67, 0xc22e4507, v63
	global_load_b128 v[45:48], v[7:8], off offset:5376
	v_lshlrev_b64_e32 v[7:8], 3, v[5:6]
	v_lshlrev_b32_e32 v5, 1, v0
	v_lshlrev_b64_e32 v[0:1], 3, v[1:2]
	v_mov_b32_e32 v2, v6
	v_lshrrev_b32_e32 v67, 9, v67
	v_add_co_u32 v7, vcc_lo, s8, v7
	s_wait_alu 0xfffd
	v_add_co_ci_u32_e32 v8, vcc_lo, s9, v8, vcc_lo
	global_load_b128 v[49:52], v[7:8], off offset:5376
	v_lshlrev_b64_e32 v[7:8], 3, v[5:6]
	v_mul_lo_u32 v5, s3, v3
	v_mad_co_u64_u32 v[3:4], null, s2, v3, 0
	s_delay_alu instid0(VALU_DEP_3) | instskip(SKIP_1) | instid1(VALU_DEP_4)
	v_add_co_u32 v7, vcc_lo, s8, v7
	s_wait_alu 0xfffd
	v_add_co_ci_u32_e32 v8, vcc_lo, s9, v8, vcc_lo
	s_delay_alu instid0(VALU_DEP_3)
	v_add3_u32 v4, v4, v32, v5
	global_load_b128 v[53:56], v[7:8], off offset:5376
	ds_load_2addr_b32 v[7:8], v26 offset0:28 offset1:163
	ds_load_2addr_b32 v[30:31], v30 offset0:56 offset1:191
	ds_load_b32 v79, v24 offset:7560
	ds_load_2addr_b32 v[34:35], v28 offset0:14 offset1:149
	ds_load_2addr_b32 v[28:29], v29 offset0:84 offset1:219
	;; [unrolled: 1-line block ×3, first 2 shown]
	ds_load_2addr_b32 v[23:24], v24 offset1:135
	ds_load_2addr_b32 v[57:58], v25 offset0:70 offset1:205
	v_mul_hi_u32 v25, 0xc22e4507, v36
	v_add_nc_u32_e32 v59, 0x87, v36
	v_add_nc_u32_e32 v65, 0x21c, v36
	v_lshlrev_b64_e32 v[3:4], 3, v[3:4]
	s_delay_alu instid0(VALU_DEP_3) | instskip(NEXT) | instid1(VALU_DEP_3)
	v_mul_hi_u32 v66, 0xc22e4507, v59
	v_mul_hi_u32 v5, 0xc22e4507, v65
	v_lshrrev_b32_e32 v25, 9, v25
	s_delay_alu instid0(VALU_DEP_4) | instskip(SKIP_2) | instid1(VALU_DEP_3)
	v_add_co_u32 v3, vcc_lo, s6, v3
	s_wait_alu 0xfffd
	v_add_co_ci_u32_e32 v4, vcc_lo, s7, v4, vcc_lo
	v_mul_u32_u24_e32 v25, 0x2a3, v25
	v_lshrrev_b32_e32 v32, 9, v66
	v_lshrrev_b32_e32 v77, 9, v5
	v_mul_u32_u24_e32 v66, 0x2a3, v73
	s_delay_alu instid0(VALU_DEP_4) | instskip(NEXT) | instid1(VALU_DEP_4)
	v_sub_nc_u32_e32 v5, v36, v25
	v_mul_u32_u24_e32 v25, 0x2a3, v32
	v_mul_u32_u24_e32 v36, 0x2a3, v67
	;; [unrolled: 1-line block ×3, first 2 shown]
	v_sub_nc_u32_e32 v74, v64, v66
	s_delay_alu instid0(VALU_DEP_4) | instskip(SKIP_3) | instid1(VALU_DEP_4)
	v_sub_nc_u32_e32 v25, v59, v25
	v_lshlrev_b32_e32 v59, 3, v5
	v_sub_nc_u32_e32 v36, v63, v36
	v_sub_nc_u32_e32 v78, v65, v68
	v_mad_u32_u24 v5, 0x7e9, v32, v25
	v_add_co_u32 v25, vcc_lo, v3, v0
	s_wait_alu 0xfffd
	v_add_co_ci_u32_e32 v32, vcc_lo, v4, v1, vcc_lo
	s_delay_alu instid0(VALU_DEP_3) | instskip(SKIP_2) | instid1(VALU_DEP_2)
	v_lshlrev_b64_e32 v[3:4], 3, v[5:6]
	v_add_nc_u32_e32 v1, 0x2a3, v5
	v_add_nc_u32_e32 v5, 0x546, v5
	v_lshlrev_b64_e32 v[0:1], 3, v[1:2]
	s_delay_alu instid0(VALU_DEP_2) | instskip(SKIP_1) | instid1(VALU_DEP_1)
	v_lshlrev_b64_e32 v[65:66], 3, v[5:6]
	v_mad_u32_u24 v5, 0x7e9, v67, v36
	v_lshlrev_b64_e32 v[67:68], 3, v[5:6]
	s_wait_loadcnt_dscnt 0x405
	v_mul_f32_e32 v36, v79, v40
	v_add_co_u32 v63, vcc_lo, v25, v59
	s_wait_alu 0xfffd
	v_add_co_ci_u32_e32 v64, vcc_lo, 0, v32, vcc_lo
	s_delay_alu instid0(VALU_DEP_3)
	v_dual_fmac_f32 v36, v33, v39 :: v_dual_add_nc_u32 v59, 0x2a3, v5
	v_add_nc_u32_e32 v5, 0x546, v5
	v_add_co_u32 v2, vcc_lo, v25, v3
	s_wait_alu 0xfffd
	v_add_co_ci_u32_e32 v3, vcc_lo, v32, v4, vcc_lo
	v_add_co_u32 v0, vcc_lo, v25, v0
	v_lshlrev_b64_e32 v[71:72], 3, v[5:6]
	v_mad_u32_u24 v5, 0x7e9, v73, v74
	s_wait_alu 0xfffd
	v_add_co_ci_u32_e32 v1, vcc_lo, v32, v1, vcc_lo
	v_add_co_u32 v65, vcc_lo, v25, v65
	v_lshlrev_b64_e32 v[69:70], 3, v[59:60]
	s_wait_alu 0xfffd
	v_add_co_ci_u32_e32 v66, vcc_lo, v32, v66, vcc_lo
	v_add_co_u32 v67, vcc_lo, v25, v67
	v_lshlrev_b64_e32 v[73:74], 3, v[5:6]
	v_add_nc_u32_e32 v60, 0x2a3, v5
	v_add_nc_u32_e32 v5, 0x546, v5
	s_wait_alu 0xfffd
	v_add_co_ci_u32_e32 v68, vcc_lo, v32, v68, vcc_lo
	v_add_co_u32 v69, vcc_lo, v25, v69
	s_wait_alu 0xfffd
	v_add_co_ci_u32_e32 v70, vcc_lo, v32, v70, vcc_lo
	v_lshlrev_b64_e32 v[75:76], 3, v[5:6]
	v_mad_u32_u24 v5, 0x7e9, v77, v78
	v_add_co_u32 v71, vcc_lo, v25, v71
	v_lshlrev_b64_e32 v[59:60], 3, v[60:61]
	s_wait_alu 0xfffd
	v_add_co_ci_u32_e32 v72, vcc_lo, v32, v72, vcc_lo
	v_add_co_u32 v73, vcc_lo, v25, v73
	v_add_nc_u32_e32 v61, 0x2a3, v5
	s_wait_alu 0xfffd
	v_add_co_ci_u32_e32 v74, vcc_lo, v32, v74, vcc_lo
	v_lshlrev_b64_e32 v[77:78], 3, v[5:6]
	v_add_co_u32 v59, vcc_lo, v25, v59
	v_add_nc_u32_e32 v5, 0x546, v5
	s_wait_alu 0xfffd
	v_add_co_ci_u32_e32 v60, vcc_lo, v32, v60, vcc_lo
	v_add_co_u32 v75, vcc_lo, v25, v75
	v_lshlrev_b64_e32 v[61:62], 3, v[61:62]
	s_wait_alu 0xfffd
	v_add_co_ci_u32_e32 v76, vcc_lo, v32, v76, vcc_lo
	v_lshlrev_b64_e32 v[4:5], 3, v[5:6]
	v_add_co_u32 v77, vcc_lo, v25, v77
	s_wait_alu 0xfffd
	v_add_co_ci_u32_e32 v78, vcc_lo, v32, v78, vcc_lo
	v_add_co_u32 v61, vcc_lo, v25, v61
	s_wait_alu 0xfffd
	v_add_co_ci_u32_e32 v62, vcc_lo, v32, v62, vcc_lo
	;; [unrolled: 3-line block ×3, first 2 shown]
	v_dual_mul_f32 v6, v22, v38 :: v_dual_mul_f32 v25, v33, v40
	v_mul_f32_e32 v32, v31, v38
	s_wait_loadcnt 0x3
	v_mul_f32_e32 v38, v20, v42
	v_mul_f32_e32 v40, v13, v44
	;; [unrolled: 1-line block ×3, first 2 shown]
	s_wait_dscnt 0x0
	v_mul_f32_e32 v44, v57, v44
	v_fma_f32 v6, v31, v37, -v6
	v_fma_f32 v25, v79, v39, -v25
	s_wait_loadcnt 0x2
	v_dual_fmac_f32 v32, v22, v37 :: v_dual_mul_f32 v37, v29, v48
	v_dual_mul_f32 v22, v21, v46 :: v_dual_mul_f32 v31, v18, v48
	v_dual_fmac_f32 v42, v20, v41 :: v_dual_mul_f32 v33, v30, v46
	v_fma_f32 v8, v8, v41, -v38
	v_fma_f32 v38, v57, v43, -v40
	v_dual_fmac_f32 v44, v13, v43 :: v_dual_add_f32 v13, v6, v25
	v_dual_sub_f32 v39, v32, v36 :: v_dual_add_f32 v20, v7, v6
	v_add_f32_e32 v40, v32, v36
	v_add_f32_e32 v32, v19, v32
	v_fma_f32 v22, v30, v45, -v22
	s_wait_loadcnt 0x1
	v_mul_f32_e32 v30, v27, v50
	v_fma_f32 v29, v29, v47, -v31
	v_dual_fmac_f32 v33, v21, v45 :: v_dual_sub_f32 v48, v8, v38
	v_dual_fmac_f32 v37, v18, v47 :: v_dual_mul_f32 v18, v16, v50
	v_dual_mul_f32 v21, v17, v52 :: v_dual_add_f32 v20, v20, v25
	v_mul_f32_e32 v31, v28, v52
	v_dual_sub_f32 v41, v6, v25 :: v_dual_add_f32 v46, v23, v8
	v_add_f32_e32 v43, v8, v38
	v_dual_sub_f32 v45, v42, v44 :: v_dual_fmac_f32 v30, v16, v49
	v_add_f32_e32 v8, v9, v42
	v_fma_f32 v7, -0.5, v13, v7
	v_fma_f32 v6, -0.5, v40, v19
	v_add_f32_e32 v47, v42, v44
	v_dual_add_f32 v19, v32, v36 :: v_dual_sub_f32 v40, v22, v29
	v_add_f32_e32 v13, v22, v29
	s_wait_loadcnt 0x0
	v_dual_sub_f32 v25, v33, v37 :: v_dual_mul_f32 v50, v14, v56
	v_add_f32_e32 v32, v35, v22
	v_add_f32_e32 v36, v33, v37
	v_dual_add_f32 v33, v12, v33 :: v_dual_mul_f32 v52, v58, v56
	v_fma_f32 v18, v27, v49, -v18
	v_fma_f32 v42, v28, v51, -v21
	v_dual_fmac_f32 v31, v17, v51 :: v_dual_add_f32 v22, v46, v38
	v_mul_f32_e32 v49, v15, v54
	v_dual_mul_f32 v51, v26, v54 :: v_dual_add_f32 v28, v32, v29
	v_fma_f32 v17, -0.5, v43, v23
	v_dual_add_f32 v21, v8, v44 :: v_dual_fmamk_f32 v8, v41, 0x3f5db3d7, v6
	v_fma_f32 v16, -0.5, v47, v9
	v_fmac_f32_e32 v6, 0xbf5db3d7, v41
	v_fma_f32 v12, -0.5, v36, v12
	v_dual_add_f32 v27, v33, v37 :: v_dual_add_f32 v36, v11, v30
	v_fma_f32 v13, -0.5, v13, v35
	v_add_f32_e32 v23, v18, v42
	v_fma_f32 v37, v26, v53, -v49
	v_add_f32_e32 v29, v34, v18
	v_add_f32_e32 v35, v30, v31
	v_fma_f32 v38, v58, v55, -v50
	v_dual_fmamk_f32 v9, v39, 0xbf5db3d7, v7 :: v_dual_fmac_f32 v52, v14, v55
	v_sub_f32_e32 v33, v30, v31
	v_dual_sub_f32 v18, v18, v42 :: v_dual_fmac_f32 v51, v15, v53
	v_fmamk_f32 v26, v25, 0xbf5db3d7, v13
	v_fmac_f32_e32 v13, 0x3f5db3d7, v25
	v_fma_f32 v30, -0.5, v23, v34
	v_add_f32_e32 v34, v24, v37
	v_add_f32_e32 v32, v29, v42
	v_fma_f32 v29, -0.5, v35, v11
	v_fmamk_f32 v25, v40, 0x3f5db3d7, v12
	v_dual_fmac_f32 v12, 0xbf5db3d7, v40 :: v_dual_add_f32 v11, v37, v38
	v_dual_fmac_f32 v7, 0x3f5db3d7, v39 :: v_dual_fmamk_f32 v14, v48, 0x3f5db3d7, v16
	v_fmac_f32_e32 v16, 0xbf5db3d7, v48
	s_delay_alu instid0(VALU_DEP_3) | instskip(SKIP_4) | instid1(VALU_DEP_3)
	v_fma_f32 v11, -0.5, v11, v24
	v_dual_add_f32 v31, v36, v31 :: v_dual_sub_f32 v36, v37, v38
	v_add_f32_e32 v35, v51, v52
	v_add_f32_e32 v37, v10, v51
	v_sub_f32_e32 v23, v51, v52
	v_fma_f32 v10, -0.5, v35, v10
	v_fmamk_f32 v15, v45, 0xbf5db3d7, v17
	v_fmac_f32_e32 v17, 0x3f5db3d7, v45
	s_clause 0x2
	global_store_b64 v[63:64], v[21:22], off
	global_store_b64 v[63:64], v[16:17], off offset:5400
	global_store_b64 v[63:64], v[14:15], off offset:10800
	v_dual_add_f32 v16, v37, v52 :: v_dual_add_f32 v17, v34, v38
	v_fmamk_f32 v22, v23, 0xbf5db3d7, v11
	v_fmac_f32_e32 v11, 0x3f5db3d7, v23
	v_fmamk_f32 v21, v36, 0x3f5db3d7, v10
	v_fmac_f32_e32 v10, 0xbf5db3d7, v36
	;; [unrolled: 2-line block ×4, first 2 shown]
	s_clause 0xb
	global_store_b64 v[2:3], v[16:17], off
	global_store_b64 v[0:1], v[10:11], off
	;; [unrolled: 1-line block ×12, first 2 shown]
.LBB0_15:
	s_nop 0
	s_sendmsg sendmsg(MSG_DEALLOC_VGPRS)
	s_endpgm
	.section	.rodata,"a",@progbits
	.p2align	6, 0x0
	.amdhsa_kernel fft_rtc_back_len2025_factors_3_3_5_5_3_3_wgs_135_tpt_135_halfLds_sp_op_CI_CI_unitstride_sbrr_dirReg
		.amdhsa_group_segment_fixed_size 0
		.amdhsa_private_segment_fixed_size 0
		.amdhsa_kernarg_size 104
		.amdhsa_user_sgpr_count 2
		.amdhsa_user_sgpr_dispatch_ptr 0
		.amdhsa_user_sgpr_queue_ptr 0
		.amdhsa_user_sgpr_kernarg_segment_ptr 1
		.amdhsa_user_sgpr_dispatch_id 0
		.amdhsa_user_sgpr_private_segment_size 0
		.amdhsa_wavefront_size32 1
		.amdhsa_uses_dynamic_stack 0
		.amdhsa_enable_private_segment 0
		.amdhsa_system_sgpr_workgroup_id_x 1
		.amdhsa_system_sgpr_workgroup_id_y 0
		.amdhsa_system_sgpr_workgroup_id_z 0
		.amdhsa_system_sgpr_workgroup_info 0
		.amdhsa_system_vgpr_workitem_id 0
		.amdhsa_next_free_vgpr 94
		.amdhsa_next_free_sgpr 39
		.amdhsa_reserve_vcc 1
		.amdhsa_float_round_mode_32 0
		.amdhsa_float_round_mode_16_64 0
		.amdhsa_float_denorm_mode_32 3
		.amdhsa_float_denorm_mode_16_64 3
		.amdhsa_fp16_overflow 0
		.amdhsa_workgroup_processor_mode 1
		.amdhsa_memory_ordered 1
		.amdhsa_forward_progress 0
		.amdhsa_round_robin_scheduling 0
		.amdhsa_exception_fp_ieee_invalid_op 0
		.amdhsa_exception_fp_denorm_src 0
		.amdhsa_exception_fp_ieee_div_zero 0
		.amdhsa_exception_fp_ieee_overflow 0
		.amdhsa_exception_fp_ieee_underflow 0
		.amdhsa_exception_fp_ieee_inexact 0
		.amdhsa_exception_int_div_zero 0
	.end_amdhsa_kernel
	.text
.Lfunc_end0:
	.size	fft_rtc_back_len2025_factors_3_3_5_5_3_3_wgs_135_tpt_135_halfLds_sp_op_CI_CI_unitstride_sbrr_dirReg, .Lfunc_end0-fft_rtc_back_len2025_factors_3_3_5_5_3_3_wgs_135_tpt_135_halfLds_sp_op_CI_CI_unitstride_sbrr_dirReg
                                        ; -- End function
	.section	.AMDGPU.csdata,"",@progbits
; Kernel info:
; codeLenInByte = 11212
; NumSgprs: 41
; NumVgprs: 94
; ScratchSize: 0
; MemoryBound: 0
; FloatMode: 240
; IeeeMode: 1
; LDSByteSize: 0 bytes/workgroup (compile time only)
; SGPRBlocks: 5
; VGPRBlocks: 11
; NumSGPRsForWavesPerEU: 41
; NumVGPRsForWavesPerEU: 94
; Occupancy: 15
; WaveLimiterHint : 1
; COMPUTE_PGM_RSRC2:SCRATCH_EN: 0
; COMPUTE_PGM_RSRC2:USER_SGPR: 2
; COMPUTE_PGM_RSRC2:TRAP_HANDLER: 0
; COMPUTE_PGM_RSRC2:TGID_X_EN: 1
; COMPUTE_PGM_RSRC2:TGID_Y_EN: 0
; COMPUTE_PGM_RSRC2:TGID_Z_EN: 0
; COMPUTE_PGM_RSRC2:TIDIG_COMP_CNT: 0
	.text
	.p2alignl 7, 3214868480
	.fill 96, 4, 3214868480
	.type	__hip_cuid_6da0e483cfb9983e,@object ; @__hip_cuid_6da0e483cfb9983e
	.section	.bss,"aw",@nobits
	.globl	__hip_cuid_6da0e483cfb9983e
__hip_cuid_6da0e483cfb9983e:
	.byte	0                               ; 0x0
	.size	__hip_cuid_6da0e483cfb9983e, 1

	.ident	"AMD clang version 19.0.0git (https://github.com/RadeonOpenCompute/llvm-project roc-6.4.0 25133 c7fe45cf4b819c5991fe208aaa96edf142730f1d)"
	.section	".note.GNU-stack","",@progbits
	.addrsig
	.addrsig_sym __hip_cuid_6da0e483cfb9983e
	.amdgpu_metadata
---
amdhsa.kernels:
  - .args:
      - .actual_access:  read_only
        .address_space:  global
        .offset:         0
        .size:           8
        .value_kind:     global_buffer
      - .offset:         8
        .size:           8
        .value_kind:     by_value
      - .actual_access:  read_only
        .address_space:  global
        .offset:         16
        .size:           8
        .value_kind:     global_buffer
      - .actual_access:  read_only
        .address_space:  global
        .offset:         24
        .size:           8
        .value_kind:     global_buffer
      - .actual_access:  read_only
        .address_space:  global
        .offset:         32
        .size:           8
        .value_kind:     global_buffer
      - .offset:         40
        .size:           8
        .value_kind:     by_value
      - .actual_access:  read_only
        .address_space:  global
        .offset:         48
        .size:           8
        .value_kind:     global_buffer
      - .actual_access:  read_only
        .address_space:  global
        .offset:         56
        .size:           8
        .value_kind:     global_buffer
      - .offset:         64
        .size:           4
        .value_kind:     by_value
      - .actual_access:  read_only
        .address_space:  global
        .offset:         72
        .size:           8
        .value_kind:     global_buffer
      - .actual_access:  read_only
        .address_space:  global
        .offset:         80
        .size:           8
        .value_kind:     global_buffer
      - .actual_access:  read_only
        .address_space:  global
        .offset:         88
        .size:           8
        .value_kind:     global_buffer
      - .actual_access:  write_only
        .address_space:  global
        .offset:         96
        .size:           8
        .value_kind:     global_buffer
    .group_segment_fixed_size: 0
    .kernarg_segment_align: 8
    .kernarg_segment_size: 104
    .language:       OpenCL C
    .language_version:
      - 2
      - 0
    .max_flat_workgroup_size: 135
    .name:           fft_rtc_back_len2025_factors_3_3_5_5_3_3_wgs_135_tpt_135_halfLds_sp_op_CI_CI_unitstride_sbrr_dirReg
    .private_segment_fixed_size: 0
    .sgpr_count:     41
    .sgpr_spill_count: 0
    .symbol:         fft_rtc_back_len2025_factors_3_3_5_5_3_3_wgs_135_tpt_135_halfLds_sp_op_CI_CI_unitstride_sbrr_dirReg.kd
    .uniform_work_group_size: 1
    .uses_dynamic_stack: false
    .vgpr_count:     94
    .vgpr_spill_count: 0
    .wavefront_size: 32
    .workgroup_processor_mode: 1
amdhsa.target:   amdgcn-amd-amdhsa--gfx1201
amdhsa.version:
  - 1
  - 2
...

	.end_amdgpu_metadata
